;; amdgpu-corpus repo=ROCm/rocSPARSE kind=compiled arch=gfx1030 opt=O3
	.amdgcn_target "amdgcn-amd-amdhsa--gfx1030"
	.amdhsa_code_object_version 6
	.section	.text._ZN9rocsparseL36csrmmnn_nnz_split_compute_row_limitsILj256ELj256EiiEEvT2_T1_S2_PKS2_PS1_21rocsparse_index_base_,"axG",@progbits,_ZN9rocsparseL36csrmmnn_nnz_split_compute_row_limitsILj256ELj256EiiEEvT2_T1_S2_PKS2_PS1_21rocsparse_index_base_,comdat
	.globl	_ZN9rocsparseL36csrmmnn_nnz_split_compute_row_limitsILj256ELj256EiiEEvT2_T1_S2_PKS2_PS1_21rocsparse_index_base_ ; -- Begin function _ZN9rocsparseL36csrmmnn_nnz_split_compute_row_limitsILj256ELj256EiiEEvT2_T1_S2_PKS2_PS1_21rocsparse_index_base_
	.p2align	8
	.type	_ZN9rocsparseL36csrmmnn_nnz_split_compute_row_limitsILj256ELj256EiiEEvT2_T1_S2_PKS2_PS1_21rocsparse_index_base_,@function
_ZN9rocsparseL36csrmmnn_nnz_split_compute_row_limitsILj256ELj256EiiEEvT2_T1_S2_PKS2_PS1_21rocsparse_index_base_: ; @_ZN9rocsparseL36csrmmnn_nnz_split_compute_row_limitsILj256ELj256EiiEEvT2_T1_S2_PKS2_PS1_21rocsparse_index_base_
; %bb.0:
	s_load_dwordx2 s[2:3], s[4:5], 0x0
	v_lshl_or_b32 v0, s6, 8, v0
	s_mov_b32 s0, exec_lo
	s_waitcnt lgkmcnt(0)
	v_cmpx_gt_i32_e64 s3, v0
	s_cbranch_execz .LBB0_7
; %bb.1:
	s_clause 0x1
	s_load_dwordx4 s[8:11], s[4:5], 0x10
	s_load_dword s4, s[4:5], 0x20
	v_lshlrev_b32_e32 v1, 8, v0
	v_mov_b32_e32 v2, 0
	s_waitcnt lgkmcnt(0)
	s_load_dword s0, s[8:9], 0x0
	s_waitcnt lgkmcnt(0)
	s_sub_i32 s0, s0, s4
	s_cmp_gt_i32 s2, 1
	v_cmp_lt_i32_e32 vcc_lo, s0, v1
	s_cselect_b32 s0, -1, 0
	s_and_b32 s0, vcc_lo, s0
	s_and_saveexec_b32 s5, s0
	s_cbranch_execz .LBB0_5
; %bb.2:
	v_mov_b32_e32 v5, 0
	s_lshr_b32 s0, s2, 1
	v_mov_b32_e32 v6, s2
	v_mov_b32_e32 v4, s0
	s_mov_b32 s6, 0
	v_mov_b32_e32 v2, v5
	s_inst_prefetch 0x1
	.p2align	6
.LBB0_3:                                ; =>This Inner Loop Header: Depth=1
	v_lshlrev_b64 v[7:8], 2, v[4:5]
	v_add_co_u32 v7, vcc_lo, s8, v7
	v_add_co_ci_u32_e64 v8, null, s9, v8, vcc_lo
	global_load_dword v3, v[7:8], off
	s_waitcnt vmcnt(0)
	v_subrev_nc_u32_e32 v7, s4, v3
	v_mov_b32_e32 v3, v5
	v_cmp_gt_i32_e32 vcc_lo, v7, v1
	v_cndmask_b32_e32 v2, v4, v2, vcc_lo
	v_cndmask_b32_e32 v6, v6, v4, vcc_lo
	v_lshlrev_b64 v[7:8], 2, v[2:3]
	v_add_nc_u32_e32 v4, v2, v6
	v_lshrrev_b32_e32 v4, 1, v4
	v_add_co_u32 v7, s0, s8, v7
	v_add_co_ci_u32_e64 v8, null, s9, v8, s0
	v_cmp_ge_i32_e32 vcc_lo, v2, v4
	v_cmp_le_i32_e64 s1, v6, v4
	global_load_dword v3, v[7:8], off
	s_waitcnt vmcnt(0)
	v_subrev_nc_u32_e32 v3, s4, v3
	v_cmp_ge_i32_e64 s0, v3, v1
	s_or_b32 s0, s0, vcc_lo
	s_or_b32 s0, s0, s1
	s_and_b32 s0, exec_lo, s0
	s_or_b32 s6, s0, s6
	s_andn2_b32 exec_lo, exec_lo, s6
	s_cbranch_execnz .LBB0_3
; %bb.4:
	s_inst_prefetch 0x2
	s_or_b32 exec_lo, exec_lo, s6
.LBB0_5:
	s_or_b32 exec_lo, exec_lo, s5
	v_ashrrev_i32_e32 v1, 31, v0
	s_add_i32 s0, s3, -1
	v_lshlrev_b64 v[3:4], 2, v[0:1]
	v_add_co_u32 v3, vcc_lo, s10, v3
	v_add_co_ci_u32_e64 v4, null, s11, v4, vcc_lo
	v_cmp_eq_u32_e32 vcc_lo, s0, v0
	global_store_dword v[3:4], v2, off
	s_and_b32 exec_lo, exec_lo, vcc_lo
	s_cbranch_execz .LBB0_7
; %bb.6:
	v_mov_b32_e32 v0, s2
	global_store_dword v[3:4], v0, off offset:4
.LBB0_7:
	s_endpgm
	.section	.rodata,"a",@progbits
	.p2align	6, 0x0
	.amdhsa_kernel _ZN9rocsparseL36csrmmnn_nnz_split_compute_row_limitsILj256ELj256EiiEEvT2_T1_S2_PKS2_PS1_21rocsparse_index_base_
		.amdhsa_group_segment_fixed_size 0
		.amdhsa_private_segment_fixed_size 0
		.amdhsa_kernarg_size 36
		.amdhsa_user_sgpr_count 6
		.amdhsa_user_sgpr_private_segment_buffer 1
		.amdhsa_user_sgpr_dispatch_ptr 0
		.amdhsa_user_sgpr_queue_ptr 0
		.amdhsa_user_sgpr_kernarg_segment_ptr 1
		.amdhsa_user_sgpr_dispatch_id 0
		.amdhsa_user_sgpr_flat_scratch_init 0
		.amdhsa_user_sgpr_private_segment_size 0
		.amdhsa_wavefront_size32 1
		.amdhsa_uses_dynamic_stack 0
		.amdhsa_system_sgpr_private_segment_wavefront_offset 0
		.amdhsa_system_sgpr_workgroup_id_x 1
		.amdhsa_system_sgpr_workgroup_id_y 0
		.amdhsa_system_sgpr_workgroup_id_z 0
		.amdhsa_system_sgpr_workgroup_info 0
		.amdhsa_system_vgpr_workitem_id 0
		.amdhsa_next_free_vgpr 9
		.amdhsa_next_free_sgpr 12
		.amdhsa_reserve_vcc 1
		.amdhsa_reserve_flat_scratch 0
		.amdhsa_float_round_mode_32 0
		.amdhsa_float_round_mode_16_64 0
		.amdhsa_float_denorm_mode_32 3
		.amdhsa_float_denorm_mode_16_64 3
		.amdhsa_dx10_clamp 1
		.amdhsa_ieee_mode 1
		.amdhsa_fp16_overflow 0
		.amdhsa_workgroup_processor_mode 1
		.amdhsa_memory_ordered 1
		.amdhsa_forward_progress 1
		.amdhsa_shared_vgpr_count 0
		.amdhsa_exception_fp_ieee_invalid_op 0
		.amdhsa_exception_fp_denorm_src 0
		.amdhsa_exception_fp_ieee_div_zero 0
		.amdhsa_exception_fp_ieee_overflow 0
		.amdhsa_exception_fp_ieee_underflow 0
		.amdhsa_exception_fp_ieee_inexact 0
		.amdhsa_exception_int_div_zero 0
	.end_amdhsa_kernel
	.section	.text._ZN9rocsparseL36csrmmnn_nnz_split_compute_row_limitsILj256ELj256EiiEEvT2_T1_S2_PKS2_PS1_21rocsparse_index_base_,"axG",@progbits,_ZN9rocsparseL36csrmmnn_nnz_split_compute_row_limitsILj256ELj256EiiEEvT2_T1_S2_PKS2_PS1_21rocsparse_index_base_,comdat
.Lfunc_end0:
	.size	_ZN9rocsparseL36csrmmnn_nnz_split_compute_row_limitsILj256ELj256EiiEEvT2_T1_S2_PKS2_PS1_21rocsparse_index_base_, .Lfunc_end0-_ZN9rocsparseL36csrmmnn_nnz_split_compute_row_limitsILj256ELj256EiiEEvT2_T1_S2_PKS2_PS1_21rocsparse_index_base_
                                        ; -- End function
	.set _ZN9rocsparseL36csrmmnn_nnz_split_compute_row_limitsILj256ELj256EiiEEvT2_T1_S2_PKS2_PS1_21rocsparse_index_base_.num_vgpr, 9
	.set _ZN9rocsparseL36csrmmnn_nnz_split_compute_row_limitsILj256ELj256EiiEEvT2_T1_S2_PKS2_PS1_21rocsparse_index_base_.num_agpr, 0
	.set _ZN9rocsparseL36csrmmnn_nnz_split_compute_row_limitsILj256ELj256EiiEEvT2_T1_S2_PKS2_PS1_21rocsparse_index_base_.numbered_sgpr, 12
	.set _ZN9rocsparseL36csrmmnn_nnz_split_compute_row_limitsILj256ELj256EiiEEvT2_T1_S2_PKS2_PS1_21rocsparse_index_base_.num_named_barrier, 0
	.set _ZN9rocsparseL36csrmmnn_nnz_split_compute_row_limitsILj256ELj256EiiEEvT2_T1_S2_PKS2_PS1_21rocsparse_index_base_.private_seg_size, 0
	.set _ZN9rocsparseL36csrmmnn_nnz_split_compute_row_limitsILj256ELj256EiiEEvT2_T1_S2_PKS2_PS1_21rocsparse_index_base_.uses_vcc, 1
	.set _ZN9rocsparseL36csrmmnn_nnz_split_compute_row_limitsILj256ELj256EiiEEvT2_T1_S2_PKS2_PS1_21rocsparse_index_base_.uses_flat_scratch, 0
	.set _ZN9rocsparseL36csrmmnn_nnz_split_compute_row_limitsILj256ELj256EiiEEvT2_T1_S2_PKS2_PS1_21rocsparse_index_base_.has_dyn_sized_stack, 0
	.set _ZN9rocsparseL36csrmmnn_nnz_split_compute_row_limitsILj256ELj256EiiEEvT2_T1_S2_PKS2_PS1_21rocsparse_index_base_.has_recursion, 0
	.set _ZN9rocsparseL36csrmmnn_nnz_split_compute_row_limitsILj256ELj256EiiEEvT2_T1_S2_PKS2_PS1_21rocsparse_index_base_.has_indirect_call, 0
	.section	.AMDGPU.csdata,"",@progbits
; Kernel info:
; codeLenInByte = 420
; TotalNumSgprs: 14
; NumVgprs: 9
; ScratchSize: 0
; MemoryBound: 0
; FloatMode: 240
; IeeeMode: 1
; LDSByteSize: 0 bytes/workgroup (compile time only)
; SGPRBlocks: 0
; VGPRBlocks: 1
; NumSGPRsForWavesPerEU: 14
; NumVGPRsForWavesPerEU: 9
; Occupancy: 16
; WaveLimiterHint : 0
; COMPUTE_PGM_RSRC2:SCRATCH_EN: 0
; COMPUTE_PGM_RSRC2:USER_SGPR: 6
; COMPUTE_PGM_RSRC2:TRAP_HANDLER: 0
; COMPUTE_PGM_RSRC2:TGID_X_EN: 1
; COMPUTE_PGM_RSRC2:TGID_Y_EN: 0
; COMPUTE_PGM_RSRC2:TGID_Z_EN: 0
; COMPUTE_PGM_RSRC2:TIDIG_COMP_CNT: 0
	.section	.text._ZN9rocsparseL36csrmmnn_nnz_split_compute_row_limitsILj256ELj256EliEEvT2_T1_S2_PKS2_PS1_21rocsparse_index_base_,"axG",@progbits,_ZN9rocsparseL36csrmmnn_nnz_split_compute_row_limitsILj256ELj256EliEEvT2_T1_S2_PKS2_PS1_21rocsparse_index_base_,comdat
	.globl	_ZN9rocsparseL36csrmmnn_nnz_split_compute_row_limitsILj256ELj256EliEEvT2_T1_S2_PKS2_PS1_21rocsparse_index_base_ ; -- Begin function _ZN9rocsparseL36csrmmnn_nnz_split_compute_row_limitsILj256ELj256EliEEvT2_T1_S2_PKS2_PS1_21rocsparse_index_base_
	.p2align	8
	.type	_ZN9rocsparseL36csrmmnn_nnz_split_compute_row_limitsILj256ELj256EliEEvT2_T1_S2_PKS2_PS1_21rocsparse_index_base_,@function
_ZN9rocsparseL36csrmmnn_nnz_split_compute_row_limitsILj256ELj256EliEEvT2_T1_S2_PKS2_PS1_21rocsparse_index_base_: ; @_ZN9rocsparseL36csrmmnn_nnz_split_compute_row_limitsILj256ELj256EliEEvT2_T1_S2_PKS2_PS1_21rocsparse_index_base_
; %bb.0:
	s_load_dwordx2 s[2:3], s[4:5], 0x8
	v_mov_b32_e32 v2, 0
	v_lshl_or_b32 v0, s6, 8, v0
	s_mov_b32 s0, exec_lo
	v_mov_b32_e32 v1, v2
	s_waitcnt lgkmcnt(0)
	v_cmpx_gt_i64_e64 s[2:3], v[0:1]
	s_cbranch_execz .LBB1_7
; %bb.1:
	s_clause 0x2
	s_load_dwordx4 s[8:11], s[4:5], 0x18
	s_load_dword s6, s[4:5], 0x28
	s_load_dword s4, s[4:5], 0x0
	v_lshlrev_b64 v[4:5], 8, v[0:1]
	s_waitcnt lgkmcnt(0)
	s_load_dwordx2 s[0:1], s[8:9], 0x0
	v_add_co_u32 v4, vcc_lo, v4, s6
	v_add_co_ci_u32_e64 v5, null, 0, v5, vcc_lo
	s_cmp_gt_i32 s4, 1
	s_mov_b32 s6, 0
	s_waitcnt lgkmcnt(0)
	v_cmp_lt_i64_e32 vcc_lo, s[0:1], v[4:5]
	s_cselect_b32 s0, -1, 0
	s_and_b32 s0, vcc_lo, s0
	s_and_saveexec_b32 s5, s0
	s_cbranch_execz .LBB1_5
; %bb.2:
	v_mov_b32_e32 v7, 0
	s_lshr_b32 s0, s4, 1
	v_mov_b32_e32 v8, s4
	v_mov_b32_e32 v6, s0
	;; [unrolled: 1-line block ×3, first 2 shown]
	s_inst_prefetch 0x1
	.p2align	6
.LBB1_3:                                ; =>This Inner Loop Header: Depth=1
	v_lshlrev_b64 v[9:10], 3, v[6:7]
	v_mov_b32_e32 v3, v7
	v_add_co_u32 v9, vcc_lo, s8, v9
	v_add_co_ci_u32_e64 v10, null, s9, v10, vcc_lo
	global_load_dwordx2 v[9:10], v[9:10], off
	s_waitcnt vmcnt(0)
	v_cmp_gt_i64_e32 vcc_lo, v[9:10], v[4:5]
	v_cndmask_b32_e32 v2, v6, v2, vcc_lo
	v_cndmask_b32_e32 v8, v8, v6, vcc_lo
	v_lshlrev_b64 v[9:10], 3, v[2:3]
	v_add_nc_u32_e32 v3, v2, v8
	v_lshrrev_b32_e32 v6, 1, v3
	v_add_co_u32 v9, s0, s8, v9
	v_add_co_ci_u32_e64 v10, null, s9, v10, s0
	v_cmp_ge_i32_e64 s0, v2, v6
	v_cmp_le_i32_e64 s1, v8, v6
	global_load_dwordx2 v[9:10], v[9:10], off
	s_waitcnt vmcnt(0)
	v_cmp_ge_i64_e32 vcc_lo, v[9:10], v[4:5]
	s_or_b32 s0, vcc_lo, s0
	s_or_b32 s0, s0, s1
	s_and_b32 s0, exec_lo, s0
	s_or_b32 s6, s0, s6
	s_andn2_b32 exec_lo, exec_lo, s6
	s_cbranch_execnz .LBB1_3
; %bb.4:
	s_inst_prefetch 0x2
	s_or_b32 exec_lo, exec_lo, s6
.LBB1_5:
	s_or_b32 exec_lo, exec_lo, s5
	v_lshlrev_b64 v[3:4], 2, v[0:1]
	s_add_u32 s0, s2, -1
	s_addc_u32 s1, s3, -1
	v_add_co_u32 v3, vcc_lo, s10, v3
	v_add_co_ci_u32_e64 v4, null, s11, v4, vcc_lo
	v_cmp_eq_u64_e32 vcc_lo, s[0:1], v[0:1]
	global_store_dword v[3:4], v2, off
	s_and_b32 exec_lo, exec_lo, vcc_lo
	s_cbranch_execz .LBB1_7
; %bb.6:
	v_mov_b32_e32 v0, s4
	global_store_dword v[3:4], v0, off offset:4
.LBB1_7:
	s_endpgm
	.section	.rodata,"a",@progbits
	.p2align	6, 0x0
	.amdhsa_kernel _ZN9rocsparseL36csrmmnn_nnz_split_compute_row_limitsILj256ELj256EliEEvT2_T1_S2_PKS2_PS1_21rocsparse_index_base_
		.amdhsa_group_segment_fixed_size 0
		.amdhsa_private_segment_fixed_size 0
		.amdhsa_kernarg_size 44
		.amdhsa_user_sgpr_count 6
		.amdhsa_user_sgpr_private_segment_buffer 1
		.amdhsa_user_sgpr_dispatch_ptr 0
		.amdhsa_user_sgpr_queue_ptr 0
		.amdhsa_user_sgpr_kernarg_segment_ptr 1
		.amdhsa_user_sgpr_dispatch_id 0
		.amdhsa_user_sgpr_flat_scratch_init 0
		.amdhsa_user_sgpr_private_segment_size 0
		.amdhsa_wavefront_size32 1
		.amdhsa_uses_dynamic_stack 0
		.amdhsa_system_sgpr_private_segment_wavefront_offset 0
		.amdhsa_system_sgpr_workgroup_id_x 1
		.amdhsa_system_sgpr_workgroup_id_y 0
		.amdhsa_system_sgpr_workgroup_id_z 0
		.amdhsa_system_sgpr_workgroup_info 0
		.amdhsa_system_vgpr_workitem_id 0
		.amdhsa_next_free_vgpr 11
		.amdhsa_next_free_sgpr 12
		.amdhsa_reserve_vcc 1
		.amdhsa_reserve_flat_scratch 0
		.amdhsa_float_round_mode_32 0
		.amdhsa_float_round_mode_16_64 0
		.amdhsa_float_denorm_mode_32 3
		.amdhsa_float_denorm_mode_16_64 3
		.amdhsa_dx10_clamp 1
		.amdhsa_ieee_mode 1
		.amdhsa_fp16_overflow 0
		.amdhsa_workgroup_processor_mode 1
		.amdhsa_memory_ordered 1
		.amdhsa_forward_progress 1
		.amdhsa_shared_vgpr_count 0
		.amdhsa_exception_fp_ieee_invalid_op 0
		.amdhsa_exception_fp_denorm_src 0
		.amdhsa_exception_fp_ieee_div_zero 0
		.amdhsa_exception_fp_ieee_overflow 0
		.amdhsa_exception_fp_ieee_underflow 0
		.amdhsa_exception_fp_ieee_inexact 0
		.amdhsa_exception_int_div_zero 0
	.end_amdhsa_kernel
	.section	.text._ZN9rocsparseL36csrmmnn_nnz_split_compute_row_limitsILj256ELj256EliEEvT2_T1_S2_PKS2_PS1_21rocsparse_index_base_,"axG",@progbits,_ZN9rocsparseL36csrmmnn_nnz_split_compute_row_limitsILj256ELj256EliEEvT2_T1_S2_PKS2_PS1_21rocsparse_index_base_,comdat
.Lfunc_end1:
	.size	_ZN9rocsparseL36csrmmnn_nnz_split_compute_row_limitsILj256ELj256EliEEvT2_T1_S2_PKS2_PS1_21rocsparse_index_base_, .Lfunc_end1-_ZN9rocsparseL36csrmmnn_nnz_split_compute_row_limitsILj256ELj256EliEEvT2_T1_S2_PKS2_PS1_21rocsparse_index_base_
                                        ; -- End function
	.set _ZN9rocsparseL36csrmmnn_nnz_split_compute_row_limitsILj256ELj256EliEEvT2_T1_S2_PKS2_PS1_21rocsparse_index_base_.num_vgpr, 11
	.set _ZN9rocsparseL36csrmmnn_nnz_split_compute_row_limitsILj256ELj256EliEEvT2_T1_S2_PKS2_PS1_21rocsparse_index_base_.num_agpr, 0
	.set _ZN9rocsparseL36csrmmnn_nnz_split_compute_row_limitsILj256ELj256EliEEvT2_T1_S2_PKS2_PS1_21rocsparse_index_base_.numbered_sgpr, 12
	.set _ZN9rocsparseL36csrmmnn_nnz_split_compute_row_limitsILj256ELj256EliEEvT2_T1_S2_PKS2_PS1_21rocsparse_index_base_.num_named_barrier, 0
	.set _ZN9rocsparseL36csrmmnn_nnz_split_compute_row_limitsILj256ELj256EliEEvT2_T1_S2_PKS2_PS1_21rocsparse_index_base_.private_seg_size, 0
	.set _ZN9rocsparseL36csrmmnn_nnz_split_compute_row_limitsILj256ELj256EliEEvT2_T1_S2_PKS2_PS1_21rocsparse_index_base_.uses_vcc, 1
	.set _ZN9rocsparseL36csrmmnn_nnz_split_compute_row_limitsILj256ELj256EliEEvT2_T1_S2_PKS2_PS1_21rocsparse_index_base_.uses_flat_scratch, 0
	.set _ZN9rocsparseL36csrmmnn_nnz_split_compute_row_limitsILj256ELj256EliEEvT2_T1_S2_PKS2_PS1_21rocsparse_index_base_.has_dyn_sized_stack, 0
	.set _ZN9rocsparseL36csrmmnn_nnz_split_compute_row_limitsILj256ELj256EliEEvT2_T1_S2_PKS2_PS1_21rocsparse_index_base_.has_recursion, 0
	.set _ZN9rocsparseL36csrmmnn_nnz_split_compute_row_limitsILj256ELj256EliEEvT2_T1_S2_PKS2_PS1_21rocsparse_index_base_.has_indirect_call, 0
	.section	.AMDGPU.csdata,"",@progbits
; Kernel info:
; codeLenInByte = 412
; TotalNumSgprs: 14
; NumVgprs: 11
; ScratchSize: 0
; MemoryBound: 0
; FloatMode: 240
; IeeeMode: 1
; LDSByteSize: 0 bytes/workgroup (compile time only)
; SGPRBlocks: 0
; VGPRBlocks: 1
; NumSGPRsForWavesPerEU: 14
; NumVGPRsForWavesPerEU: 11
; Occupancy: 16
; WaveLimiterHint : 0
; COMPUTE_PGM_RSRC2:SCRATCH_EN: 0
; COMPUTE_PGM_RSRC2:USER_SGPR: 6
; COMPUTE_PGM_RSRC2:TRAP_HANDLER: 0
; COMPUTE_PGM_RSRC2:TGID_X_EN: 1
; COMPUTE_PGM_RSRC2:TGID_Y_EN: 0
; COMPUTE_PGM_RSRC2:TGID_Z_EN: 0
; COMPUTE_PGM_RSRC2:TIDIG_COMP_CNT: 0
	.section	.text._ZN9rocsparseL36csrmmnn_nnz_split_compute_row_limitsILj256ELj256EllEEvT2_T1_S2_PKS2_PS1_21rocsparse_index_base_,"axG",@progbits,_ZN9rocsparseL36csrmmnn_nnz_split_compute_row_limitsILj256ELj256EllEEvT2_T1_S2_PKS2_PS1_21rocsparse_index_base_,comdat
	.globl	_ZN9rocsparseL36csrmmnn_nnz_split_compute_row_limitsILj256ELj256EllEEvT2_T1_S2_PKS2_PS1_21rocsparse_index_base_ ; -- Begin function _ZN9rocsparseL36csrmmnn_nnz_split_compute_row_limitsILj256ELj256EllEEvT2_T1_S2_PKS2_PS1_21rocsparse_index_base_
	.p2align	8
	.type	_ZN9rocsparseL36csrmmnn_nnz_split_compute_row_limitsILj256ELj256EllEEvT2_T1_S2_PKS2_PS1_21rocsparse_index_base_,@function
_ZN9rocsparseL36csrmmnn_nnz_split_compute_row_limitsILj256ELj256EllEEvT2_T1_S2_PKS2_PS1_21rocsparse_index_base_: ; @_ZN9rocsparseL36csrmmnn_nnz_split_compute_row_limitsILj256ELj256EllEEvT2_T1_S2_PKS2_PS1_21rocsparse_index_base_
; %bb.0:
	s_load_dwordx4 s[8:11], s[4:5], 0x0
	v_lshl_or_b32 v0, s6, 8, v0
	v_mov_b32_e32 v1, 0
	s_mov_b32 s0, exec_lo
	s_waitcnt lgkmcnt(0)
	v_cmpx_gt_i64_e64 s[10:11], v[0:1]
	s_cbranch_execz .LBB2_7
; %bb.1:
	s_clause 0x1
	s_load_dwordx4 s[12:15], s[4:5], 0x18
	s_load_dword s2, s[4:5], 0x28
	v_lshlrev_b64 v[2:3], 8, v[0:1]
	s_mov_b32 s3, 0
	s_waitcnt lgkmcnt(0)
	s_load_dwordx2 s[0:1], s[12:13], 0x0
	v_add_co_u32 v4, vcc_lo, v2, s2
	v_add_co_ci_u32_e64 v5, null, 0, v3, vcc_lo
	v_mov_b32_e32 v2, 0
	v_mov_b32_e32 v3, 0
	s_waitcnt lgkmcnt(0)
	v_cmp_lt_i64_e32 vcc_lo, s[0:1], v[4:5]
	v_cmp_gt_i64_e64 s0, s[8:9], 1
	s_and_b32 s0, vcc_lo, s0
	s_and_saveexec_b32 s2, s0
	s_cbranch_execz .LBB2_5
; %bb.2:
	s_lshr_b64 s[0:1], s[8:9], 1
	v_mov_b32_e32 v2, 0
	v_mov_b32_e32 v9, s1
	;; [unrolled: 1-line block ×6, first 2 shown]
	s_inst_prefetch 0x1
	.p2align	6
.LBB2_3:                                ; =>This Inner Loop Header: Depth=1
	v_lshlrev_b64 v[10:11], 3, v[8:9]
	v_add_co_u32 v10, vcc_lo, s12, v10
	v_add_co_ci_u32_e64 v11, null, s13, v11, vcc_lo
	global_load_dwordx2 v[10:11], v[10:11], off
	s_waitcnt vmcnt(0)
	v_cmp_gt_i64_e32 vcc_lo, v[10:11], v[4:5]
	v_cndmask_b32_e32 v3, v9, v3, vcc_lo
	v_cndmask_b32_e32 v2, v8, v2, vcc_lo
	;; [unrolled: 1-line block ×4, first 2 shown]
	v_lshlrev_b64 v[10:11], 3, v[2:3]
	v_add_co_u32 v8, vcc_lo, v2, v6
	v_add_co_ci_u32_e64 v9, null, v3, v7, vcc_lo
	v_add_co_u32 v10, s0, s12, v10
	v_add_co_ci_u32_e64 v11, null, s13, v11, s0
	v_lshrrev_b64 v[8:9], 1, v[8:9]
	global_load_dwordx2 v[10:11], v[10:11], off
	v_cmp_ge_i64_e32 vcc_lo, v[2:3], v[8:9]
	v_cmp_le_i64_e64 s1, v[6:7], v[8:9]
	s_waitcnt vmcnt(0)
	v_cmp_ge_i64_e64 s0, v[10:11], v[4:5]
	s_or_b32 s0, s0, vcc_lo
	s_or_b32 s0, s0, s1
	s_and_b32 s0, exec_lo, s0
	s_or_b32 s3, s0, s3
	s_andn2_b32 exec_lo, exec_lo, s3
	s_cbranch_execnz .LBB2_3
; %bb.4:
	s_inst_prefetch 0x2
	s_or_b32 exec_lo, exec_lo, s3
.LBB2_5:
	s_or_b32 exec_lo, exec_lo, s2
	v_lshlrev_b64 v[4:5], 3, v[0:1]
	s_add_u32 s0, s10, -1
	s_addc_u32 s1, s11, -1
	v_add_co_u32 v4, vcc_lo, s14, v4
	v_add_co_ci_u32_e64 v5, null, s15, v5, vcc_lo
	v_cmp_eq_u64_e32 vcc_lo, s[0:1], v[0:1]
	global_store_dwordx2 v[4:5], v[2:3], off
	s_and_b32 exec_lo, exec_lo, vcc_lo
	s_cbranch_execz .LBB2_7
; %bb.6:
	v_mov_b32_e32 v0, s8
	v_mov_b32_e32 v1, s9
	global_store_dwordx2 v[4:5], v[0:1], off offset:8
.LBB2_7:
	s_endpgm
	.section	.rodata,"a",@progbits
	.p2align	6, 0x0
	.amdhsa_kernel _ZN9rocsparseL36csrmmnn_nnz_split_compute_row_limitsILj256ELj256EllEEvT2_T1_S2_PKS2_PS1_21rocsparse_index_base_
		.amdhsa_group_segment_fixed_size 0
		.amdhsa_private_segment_fixed_size 0
		.amdhsa_kernarg_size 44
		.amdhsa_user_sgpr_count 6
		.amdhsa_user_sgpr_private_segment_buffer 1
		.amdhsa_user_sgpr_dispatch_ptr 0
		.amdhsa_user_sgpr_queue_ptr 0
		.amdhsa_user_sgpr_kernarg_segment_ptr 1
		.amdhsa_user_sgpr_dispatch_id 0
		.amdhsa_user_sgpr_flat_scratch_init 0
		.amdhsa_user_sgpr_private_segment_size 0
		.amdhsa_wavefront_size32 1
		.amdhsa_uses_dynamic_stack 0
		.amdhsa_system_sgpr_private_segment_wavefront_offset 0
		.amdhsa_system_sgpr_workgroup_id_x 1
		.amdhsa_system_sgpr_workgroup_id_y 0
		.amdhsa_system_sgpr_workgroup_id_z 0
		.amdhsa_system_sgpr_workgroup_info 0
		.amdhsa_system_vgpr_workitem_id 0
		.amdhsa_next_free_vgpr 12
		.amdhsa_next_free_sgpr 16
		.amdhsa_reserve_vcc 1
		.amdhsa_reserve_flat_scratch 0
		.amdhsa_float_round_mode_32 0
		.amdhsa_float_round_mode_16_64 0
		.amdhsa_float_denorm_mode_32 3
		.amdhsa_float_denorm_mode_16_64 3
		.amdhsa_dx10_clamp 1
		.amdhsa_ieee_mode 1
		.amdhsa_fp16_overflow 0
		.amdhsa_workgroup_processor_mode 1
		.amdhsa_memory_ordered 1
		.amdhsa_forward_progress 1
		.amdhsa_shared_vgpr_count 0
		.amdhsa_exception_fp_ieee_invalid_op 0
		.amdhsa_exception_fp_denorm_src 0
		.amdhsa_exception_fp_ieee_div_zero 0
		.amdhsa_exception_fp_ieee_overflow 0
		.amdhsa_exception_fp_ieee_underflow 0
		.amdhsa_exception_fp_ieee_inexact 0
		.amdhsa_exception_int_div_zero 0
	.end_amdhsa_kernel
	.section	.text._ZN9rocsparseL36csrmmnn_nnz_split_compute_row_limitsILj256ELj256EllEEvT2_T1_S2_PKS2_PS1_21rocsparse_index_base_,"axG",@progbits,_ZN9rocsparseL36csrmmnn_nnz_split_compute_row_limitsILj256ELj256EllEEvT2_T1_S2_PKS2_PS1_21rocsparse_index_base_,comdat
.Lfunc_end2:
	.size	_ZN9rocsparseL36csrmmnn_nnz_split_compute_row_limitsILj256ELj256EllEEvT2_T1_S2_PKS2_PS1_21rocsparse_index_base_, .Lfunc_end2-_ZN9rocsparseL36csrmmnn_nnz_split_compute_row_limitsILj256ELj256EllEEvT2_T1_S2_PKS2_PS1_21rocsparse_index_base_
                                        ; -- End function
	.set _ZN9rocsparseL36csrmmnn_nnz_split_compute_row_limitsILj256ELj256EllEEvT2_T1_S2_PKS2_PS1_21rocsparse_index_base_.num_vgpr, 12
	.set _ZN9rocsparseL36csrmmnn_nnz_split_compute_row_limitsILj256ELj256EllEEvT2_T1_S2_PKS2_PS1_21rocsparse_index_base_.num_agpr, 0
	.set _ZN9rocsparseL36csrmmnn_nnz_split_compute_row_limitsILj256ELj256EllEEvT2_T1_S2_PKS2_PS1_21rocsparse_index_base_.numbered_sgpr, 16
	.set _ZN9rocsparseL36csrmmnn_nnz_split_compute_row_limitsILj256ELj256EllEEvT2_T1_S2_PKS2_PS1_21rocsparse_index_base_.num_named_barrier, 0
	.set _ZN9rocsparseL36csrmmnn_nnz_split_compute_row_limitsILj256ELj256EllEEvT2_T1_S2_PKS2_PS1_21rocsparse_index_base_.private_seg_size, 0
	.set _ZN9rocsparseL36csrmmnn_nnz_split_compute_row_limitsILj256ELj256EllEEvT2_T1_S2_PKS2_PS1_21rocsparse_index_base_.uses_vcc, 1
	.set _ZN9rocsparseL36csrmmnn_nnz_split_compute_row_limitsILj256ELj256EllEEvT2_T1_S2_PKS2_PS1_21rocsparse_index_base_.uses_flat_scratch, 0
	.set _ZN9rocsparseL36csrmmnn_nnz_split_compute_row_limitsILj256ELj256EllEEvT2_T1_S2_PKS2_PS1_21rocsparse_index_base_.has_dyn_sized_stack, 0
	.set _ZN9rocsparseL36csrmmnn_nnz_split_compute_row_limitsILj256ELj256EllEEvT2_T1_S2_PKS2_PS1_21rocsparse_index_base_.has_recursion, 0
	.set _ZN9rocsparseL36csrmmnn_nnz_split_compute_row_limitsILj256ELj256EllEEvT2_T1_S2_PKS2_PS1_21rocsparse_index_base_.has_indirect_call, 0
	.section	.AMDGPU.csdata,"",@progbits
; Kernel info:
; codeLenInByte = 436
; TotalNumSgprs: 18
; NumVgprs: 12
; ScratchSize: 0
; MemoryBound: 0
; FloatMode: 240
; IeeeMode: 1
; LDSByteSize: 0 bytes/workgroup (compile time only)
; SGPRBlocks: 0
; VGPRBlocks: 1
; NumSGPRsForWavesPerEU: 18
; NumVGPRsForWavesPerEU: 12
; Occupancy: 16
; WaveLimiterHint : 0
; COMPUTE_PGM_RSRC2:SCRATCH_EN: 0
; COMPUTE_PGM_RSRC2:USER_SGPR: 6
; COMPUTE_PGM_RSRC2:TRAP_HANDLER: 0
; COMPUTE_PGM_RSRC2:TGID_X_EN: 1
; COMPUTE_PGM_RSRC2:TGID_Y_EN: 0
; COMPUTE_PGM_RSRC2:TGID_Z_EN: 0
; COMPUTE_PGM_RSRC2:TIDIG_COMP_CNT: 0
	.section	.text._ZN9rocsparseL28csrmmnn_general_block_reduceILj1024EiiffEEvT0_PKT1_PKT3_PT2_l16rocsparse_order_,"axG",@progbits,_ZN9rocsparseL28csrmmnn_general_block_reduceILj1024EiiffEEvT0_PKT1_PKT3_PT2_l16rocsparse_order_,comdat
	.globl	_ZN9rocsparseL28csrmmnn_general_block_reduceILj1024EiiffEEvT0_PKT1_PKT3_PT2_l16rocsparse_order_ ; -- Begin function _ZN9rocsparseL28csrmmnn_general_block_reduceILj1024EiiffEEvT0_PKT1_PKT3_PT2_l16rocsparse_order_
	.p2align	8
	.type	_ZN9rocsparseL28csrmmnn_general_block_reduceILj1024EiiffEEvT0_PKT1_PKT3_PT2_l16rocsparse_order_,@function
_ZN9rocsparseL28csrmmnn_general_block_reduceILj1024EiiffEEvT0_PKT1_PKT3_PT2_l16rocsparse_order_: ; @_ZN9rocsparseL28csrmmnn_general_block_reduceILj1024EiiffEEvT0_PKT1_PKT3_PT2_l16rocsparse_order_
; %bb.0:
	s_load_dword s20, s[4:5], 0x0
	v_lshlrev_b32_e32 v3, 2, v0
	v_mov_b32_e32 v1, -1
	v_mov_b32_e32 v2, 0
	s_mov_b32 s0, exec_lo
	ds_write2st64_b32 v3, v1, v2 offset1:16
	s_waitcnt lgkmcnt(0)
	s_barrier
	buffer_gl0_inv
	v_cmpx_gt_i32_e64 s20, v0
	s_cbranch_execz .LBB3_50
; %bb.1:
	s_clause 0x1
	s_load_dword s7, s[4:5], 0x28
	s_load_dwordx8 s[12:19], s[4:5], 0x8
	v_or_b32_e32 v4, 0x1000, v3
	s_mul_i32 s21, s20, s6
	v_cmp_ne_u32_e64 s0, 0, v0
	v_add_nc_u32_e32 v5, -4, v3
	v_cmp_lt_u32_e64 s1, 1, v0
	v_add_nc_u32_e32 v6, -4, v4
	v_add_nc_u32_e32 v7, -8, v3
	;; [unrolled: 1-line block ×3, first 2 shown]
	v_cmp_lt_u32_e64 s2, 3, v0
	v_add_nc_u32_e32 v9, -16, v3
	v_add_nc_u32_e32 v10, -16, v4
	v_cmp_lt_u32_e64 s3, 7, v0
	v_subrev_nc_u32_e32 v11, 32, v3
	v_subrev_nc_u32_e32 v12, 32, v4
	v_cmp_lt_u32_e64 s4, 15, v0
	v_subrev_nc_u32_e32 v13, 64, v3
	v_subrev_nc_u32_e32 v14, 64, v4
	v_cmp_lt_u32_e64 s5, 31, v0
	s_waitcnt lgkmcnt(0)
	s_cmp_lg_u32 s7, 1
	s_mul_hi_u32 s26, s18, s6
	s_cselect_b32 s22, -1, 0
	s_ashr_i32 s7, s6, 31
	v_add_nc_u32_e32 v15, 0xffffff80, v3
	s_lshl_b64 s[24:25], s[6:7], 2
	s_mul_i32 s7, s18, s7
	s_add_u32 s23, s16, s24
	s_addc_u32 s24, s17, s25
	s_add_i32 s7, s26, s7
	s_mul_i32 s25, s19, s6
	s_mul_i32 s26, s18, s6
	s_add_i32 s27, s7, s25
	v_add_nc_u32_e32 v16, 0xffffff80, v4
	v_cmp_lt_u32_e64 s8, 63, v0
	v_add_nc_u32_e32 v17, 0xffffff00, v3
	v_add_nc_u32_e32 v18, 0xffffff00, v4
	v_cmp_lt_u32_e64 s9, 0x7f, v0
	v_add_nc_u32_e32 v19, 0xfffffe00, v3
	;; [unrolled: 3-line block ×4, first 2 shown]
	v_add_nc_u32_e32 v24, 0xfffff800, v4
	v_cmp_ne_u32_e64 s6, 0x3ff, v0
	s_lshl_b64 s[26:27], s[26:27], 2
	s_mov_b32 s25, 0
	s_add_u32 s16, s16, s26
	s_addc_u32 s17, s17, s27
	s_branch .LBB3_3
.LBB3_2:                                ;   in Loop: Header=BB3_3 Depth=1
	s_or_b32 exec_lo, exec_lo, s7
	v_add_nc_u32_e32 v0, 0x400, v0
	s_waitcnt_vscnt null, 0x0
	s_barrier
	buffer_gl0_inv
	v_cmp_le_i32_e32 vcc_lo, s20, v0
	s_or_b32 s25, vcc_lo, s25
	s_andn2_b32 exec_lo, exec_lo, s25
	s_cbranch_execz .LBB3_50
.LBB3_3:                                ; =>This Inner Loop Header: Depth=1
	v_add_nc_u32_e32 v25, s21, v0
	v_ashrrev_i32_e32 v1, 31, v0
	v_ashrrev_i32_e32 v26, 31, v25
	v_lshlrev_b64 v[27:28], 2, v[0:1]
	v_mov_b32_e32 v1, 0
	v_lshlrev_b64 v[25:26], 2, v[25:26]
	v_add_co_u32 v27, vcc_lo, s12, v27
	v_add_co_ci_u32_e64 v28, null, s13, v28, vcc_lo
	v_add_co_u32 v25, vcc_lo, s14, v25
	v_add_co_ci_u32_e64 v26, null, s15, v26, vcc_lo
	global_load_dword v27, v[27:28], off
	global_load_dword v26, v[25:26], off
	v_mov_b32_e32 v25, 0
	s_waitcnt vmcnt(1)
	ds_write_b32 v3, v27
	s_waitcnt vmcnt(0)
	ds_write_b32 v4, v26
	s_waitcnt lgkmcnt(0)
	s_barrier
	buffer_gl0_inv
	s_and_saveexec_b32 s7, s0
	s_cbranch_execz .LBB3_7
; %bb.4:                                ;   in Loop: Header=BB3_3 Depth=1
	ds_read2_b32 v[25:26], v5 offset1:1
	s_waitcnt lgkmcnt(0)
	v_cmp_eq_u32_e32 vcc_lo, v26, v25
	v_mov_b32_e32 v25, 0
	s_and_saveexec_b32 s26, vcc_lo
; %bb.5:                                ;   in Loop: Header=BB3_3 Depth=1
	ds_read_b32 v25, v6
; %bb.6:                                ;   in Loop: Header=BB3_3 Depth=1
	s_or_b32 exec_lo, exec_lo, s26
.LBB3_7:                                ;   in Loop: Header=BB3_3 Depth=1
	s_or_b32 exec_lo, exec_lo, s7
	s_waitcnt lgkmcnt(0)
	s_barrier
	buffer_gl0_inv
	ds_read_b32 v26, v4
	s_waitcnt lgkmcnt(0)
	v_add_f32_e32 v25, v25, v26
	ds_write_b32 v4, v25
	s_waitcnt lgkmcnt(0)
	s_barrier
	buffer_gl0_inv
	s_and_saveexec_b32 s7, s1
	s_cbranch_execz .LBB3_11
; %bb.8:                                ;   in Loop: Header=BB3_3 Depth=1
	ds_read_b32 v1, v3
	ds_read_b32 v25, v7
	s_waitcnt lgkmcnt(0)
	v_cmp_eq_u32_e32 vcc_lo, v1, v25
	v_mov_b32_e32 v1, 0
	s_and_saveexec_b32 s26, vcc_lo
; %bb.9:                                ;   in Loop: Header=BB3_3 Depth=1
	ds_read_b32 v1, v8
; %bb.10:                               ;   in Loop: Header=BB3_3 Depth=1
	s_or_b32 exec_lo, exec_lo, s26
.LBB3_11:                               ;   in Loop: Header=BB3_3 Depth=1
	s_or_b32 exec_lo, exec_lo, s7
	s_waitcnt lgkmcnt(0)
	s_barrier
	buffer_gl0_inv
	ds_read_b32 v25, v4
	s_waitcnt lgkmcnt(0)
	v_add_f32_e32 v26, v1, v25
	v_mov_b32_e32 v1, 0
	v_mov_b32_e32 v25, 0
	ds_write_b32 v4, v26
	s_waitcnt lgkmcnt(0)
	s_barrier
	buffer_gl0_inv
	s_and_saveexec_b32 s7, s2
	s_cbranch_execz .LBB3_15
; %bb.12:                               ;   in Loop: Header=BB3_3 Depth=1
	ds_read_b32 v25, v3
	ds_read_b32 v26, v9
	s_waitcnt lgkmcnt(0)
	v_cmp_eq_u32_e32 vcc_lo, v25, v26
	v_mov_b32_e32 v25, 0
	s_and_saveexec_b32 s26, vcc_lo
; %bb.13:                               ;   in Loop: Header=BB3_3 Depth=1
	ds_read_b32 v25, v10
; %bb.14:                               ;   in Loop: Header=BB3_3 Depth=1
	s_or_b32 exec_lo, exec_lo, s26
.LBB3_15:                               ;   in Loop: Header=BB3_3 Depth=1
	s_or_b32 exec_lo, exec_lo, s7
	s_waitcnt lgkmcnt(0)
	s_barrier
	buffer_gl0_inv
	ds_read_b32 v26, v4
	s_waitcnt lgkmcnt(0)
	v_add_f32_e32 v25, v25, v26
	ds_write_b32 v4, v25
	s_waitcnt lgkmcnt(0)
	s_barrier
	buffer_gl0_inv
	s_and_saveexec_b32 s7, s3
	s_cbranch_execz .LBB3_19
; %bb.16:                               ;   in Loop: Header=BB3_3 Depth=1
	ds_read_b32 v1, v3
	ds_read_b32 v25, v11
	s_waitcnt lgkmcnt(0)
	v_cmp_eq_u32_e32 vcc_lo, v1, v25
	v_mov_b32_e32 v1, 0
	s_and_saveexec_b32 s26, vcc_lo
; %bb.17:                               ;   in Loop: Header=BB3_3 Depth=1
	ds_read_b32 v1, v12
; %bb.18:                               ;   in Loop: Header=BB3_3 Depth=1
	s_or_b32 exec_lo, exec_lo, s26
.LBB3_19:                               ;   in Loop: Header=BB3_3 Depth=1
	s_or_b32 exec_lo, exec_lo, s7
	s_waitcnt lgkmcnt(0)
	s_barrier
	buffer_gl0_inv
	ds_read_b32 v25, v4
	s_waitcnt lgkmcnt(0)
	v_add_f32_e32 v26, v1, v25
	v_mov_b32_e32 v1, 0
	v_mov_b32_e32 v25, 0
	ds_write_b32 v4, v26
	s_waitcnt lgkmcnt(0)
	s_barrier
	buffer_gl0_inv
	s_and_saveexec_b32 s7, s4
	s_cbranch_execz .LBB3_23
; %bb.20:                               ;   in Loop: Header=BB3_3 Depth=1
	ds_read_b32 v25, v3
	ds_read_b32 v26, v13
	s_waitcnt lgkmcnt(0)
	v_cmp_eq_u32_e32 vcc_lo, v25, v26
	v_mov_b32_e32 v25, 0
	s_and_saveexec_b32 s26, vcc_lo
; %bb.21:                               ;   in Loop: Header=BB3_3 Depth=1
	ds_read_b32 v25, v14
; %bb.22:                               ;   in Loop: Header=BB3_3 Depth=1
	s_or_b32 exec_lo, exec_lo, s26
.LBB3_23:                               ;   in Loop: Header=BB3_3 Depth=1
	s_or_b32 exec_lo, exec_lo, s7
	s_waitcnt lgkmcnt(0)
	s_barrier
	buffer_gl0_inv
	ds_read_b32 v26, v4
	s_waitcnt lgkmcnt(0)
	v_add_f32_e32 v25, v25, v26
	ds_write_b32 v4, v25
	s_waitcnt lgkmcnt(0)
	s_barrier
	buffer_gl0_inv
	s_and_saveexec_b32 s7, s5
	s_cbranch_execz .LBB3_27
; %bb.24:                               ;   in Loop: Header=BB3_3 Depth=1
	ds_read_b32 v1, v3
	ds_read_b32 v25, v15
	s_waitcnt lgkmcnt(0)
	v_cmp_eq_u32_e32 vcc_lo, v1, v25
	v_mov_b32_e32 v1, 0
	s_and_saveexec_b32 s26, vcc_lo
; %bb.25:                               ;   in Loop: Header=BB3_3 Depth=1
	ds_read_b32 v1, v16
; %bb.26:                               ;   in Loop: Header=BB3_3 Depth=1
	s_or_b32 exec_lo, exec_lo, s26
.LBB3_27:                               ;   in Loop: Header=BB3_3 Depth=1
	s_or_b32 exec_lo, exec_lo, s7
	s_waitcnt lgkmcnt(0)
	s_barrier
	buffer_gl0_inv
	ds_read_b32 v25, v4
	s_waitcnt lgkmcnt(0)
	v_add_f32_e32 v26, v1, v25
	v_mov_b32_e32 v1, 0
	v_mov_b32_e32 v25, 0
	ds_write_b32 v4, v26
	s_waitcnt lgkmcnt(0)
	s_barrier
	buffer_gl0_inv
	s_and_saveexec_b32 s7, s8
	s_cbranch_execz .LBB3_31
; %bb.28:                               ;   in Loop: Header=BB3_3 Depth=1
	ds_read_b32 v25, v3
	ds_read_b32 v26, v17
	s_waitcnt lgkmcnt(0)
	v_cmp_eq_u32_e32 vcc_lo, v25, v26
	v_mov_b32_e32 v25, 0
	s_and_saveexec_b32 s26, vcc_lo
; %bb.29:                               ;   in Loop: Header=BB3_3 Depth=1
	ds_read_b32 v25, v18
; %bb.30:                               ;   in Loop: Header=BB3_3 Depth=1
	s_or_b32 exec_lo, exec_lo, s26
.LBB3_31:                               ;   in Loop: Header=BB3_3 Depth=1
	s_or_b32 exec_lo, exec_lo, s7
	s_waitcnt lgkmcnt(0)
	s_barrier
	buffer_gl0_inv
	ds_read_b32 v26, v4
	s_waitcnt lgkmcnt(0)
	v_add_f32_e32 v25, v25, v26
	ds_write_b32 v4, v25
	s_waitcnt lgkmcnt(0)
	s_barrier
	buffer_gl0_inv
	s_and_saveexec_b32 s7, s9
	s_cbranch_execz .LBB3_35
; %bb.32:                               ;   in Loop: Header=BB3_3 Depth=1
	ds_read_b32 v1, v3
	ds_read_b32 v25, v19
	s_waitcnt lgkmcnt(0)
	v_cmp_eq_u32_e32 vcc_lo, v1, v25
	v_mov_b32_e32 v1, 0
	s_and_saveexec_b32 s26, vcc_lo
; %bb.33:                               ;   in Loop: Header=BB3_3 Depth=1
	ds_read_b32 v1, v20
; %bb.34:                               ;   in Loop: Header=BB3_3 Depth=1
	s_or_b32 exec_lo, exec_lo, s26
.LBB3_35:                               ;   in Loop: Header=BB3_3 Depth=1
	s_or_b32 exec_lo, exec_lo, s7
	s_waitcnt lgkmcnt(0)
	s_barrier
	buffer_gl0_inv
	ds_read_b32 v25, v4
	s_waitcnt lgkmcnt(0)
	v_add_f32_e32 v26, v1, v25
	v_mov_b32_e32 v1, 0
	v_mov_b32_e32 v25, 0
	ds_write_b32 v4, v26
	s_waitcnt lgkmcnt(0)
	s_barrier
	buffer_gl0_inv
	s_and_saveexec_b32 s7, s10
	s_cbranch_execz .LBB3_39
; %bb.36:                               ;   in Loop: Header=BB3_3 Depth=1
	ds_read_b32 v25, v3
	ds_read_b32 v26, v21
	s_waitcnt lgkmcnt(0)
	v_cmp_eq_u32_e32 vcc_lo, v25, v26
	v_mov_b32_e32 v25, 0
	s_and_saveexec_b32 s26, vcc_lo
; %bb.37:                               ;   in Loop: Header=BB3_3 Depth=1
	ds_read_b32 v25, v22
; %bb.38:                               ;   in Loop: Header=BB3_3 Depth=1
	s_or_b32 exec_lo, exec_lo, s26
.LBB3_39:                               ;   in Loop: Header=BB3_3 Depth=1
	s_or_b32 exec_lo, exec_lo, s7
	s_waitcnt lgkmcnt(0)
	s_barrier
	buffer_gl0_inv
	ds_read_b32 v26, v4
	s_waitcnt lgkmcnt(0)
	v_add_f32_e32 v25, v25, v26
	ds_write_b32 v4, v25
	s_waitcnt lgkmcnt(0)
	s_barrier
	buffer_gl0_inv
	s_and_saveexec_b32 s7, s11
	s_cbranch_execz .LBB3_43
; %bb.40:                               ;   in Loop: Header=BB3_3 Depth=1
	ds_read_b32 v1, v3
	ds_read_b32 v25, v23
	s_waitcnt lgkmcnt(0)
	v_cmp_eq_u32_e32 vcc_lo, v1, v25
	v_mov_b32_e32 v1, 0
	s_and_saveexec_b32 s26, vcc_lo
; %bb.41:                               ;   in Loop: Header=BB3_3 Depth=1
	ds_read_b32 v1, v24
; %bb.42:                               ;   in Loop: Header=BB3_3 Depth=1
	s_or_b32 exec_lo, exec_lo, s26
.LBB3_43:                               ;   in Loop: Header=BB3_3 Depth=1
	s_or_b32 exec_lo, exec_lo, s7
	s_waitcnt lgkmcnt(0)
	s_barrier
	buffer_gl0_inv
	ds_read_b32 v25, v4
	s_waitcnt lgkmcnt(0)
	v_add_f32_e32 v1, v1, v25
	v_mov_b32_e32 v25, -1
	ds_write_b32 v4, v1
	s_waitcnt lgkmcnt(0)
	s_barrier
	buffer_gl0_inv
	ds_read_b32 v1, v3
	s_and_saveexec_b32 s7, s6
; %bb.44:                               ;   in Loop: Header=BB3_3 Depth=1
	ds_read_b32 v25, v3 offset:4
; %bb.45:                               ;   in Loop: Header=BB3_3 Depth=1
	s_or_b32 exec_lo, exec_lo, s7
	s_waitcnt lgkmcnt(0)
	v_cmp_ne_u32_e32 vcc_lo, v1, v25
	v_cmp_lt_i32_e64 s7, -1, v1
	s_and_b32 s26, s7, vcc_lo
	s_and_saveexec_b32 s7, s26
	s_cbranch_execz .LBB3_2
; %bb.46:                               ;   in Loop: Header=BB3_3 Depth=1
	s_and_b32 vcc_lo, exec_lo, s22
	s_mov_b32 s26, -1
	s_cbranch_vccz .LBB3_48
; %bb.47:                               ;   in Loop: Header=BB3_3 Depth=1
	v_mad_u64_u32 v[25:26], null, s18, v1, 0
	ds_read_b32 v28, v4
	s_mov_b32 s26, 0
	v_mad_u64_u32 v[26:27], null, s19, v1, v[26:27]
	v_lshlrev_b64 v[25:26], 2, v[25:26]
	v_add_co_u32 v25, vcc_lo, s23, v25
	v_add_co_ci_u32_e64 v26, null, s24, v26, vcc_lo
	global_load_dword v27, v[25:26], off
	s_waitcnt vmcnt(0) lgkmcnt(0)
	v_add_f32_e32 v27, v27, v28
	global_store_dword v[25:26], v27, off
.LBB3_48:                               ;   in Loop: Header=BB3_3 Depth=1
	s_andn2_b32 vcc_lo, exec_lo, s26
	s_cbranch_vccnz .LBB3_2
; %bb.49:                               ;   in Loop: Header=BB3_3 Depth=1
	v_lshlrev_b64 v[25:26], 2, v[1:2]
	ds_read_b32 v27, v4
	v_add_co_u32 v25, vcc_lo, s16, v25
	v_add_co_ci_u32_e64 v26, null, s17, v26, vcc_lo
	global_load_dword v1, v[25:26], off
	s_waitcnt vmcnt(0) lgkmcnt(0)
	v_add_f32_e32 v1, v1, v27
	global_store_dword v[25:26], v1, off
	s_branch .LBB3_2
.LBB3_50:
	s_endpgm
	.section	.rodata,"a",@progbits
	.p2align	6, 0x0
	.amdhsa_kernel _ZN9rocsparseL28csrmmnn_general_block_reduceILj1024EiiffEEvT0_PKT1_PKT3_PT2_l16rocsparse_order_
		.amdhsa_group_segment_fixed_size 8192
		.amdhsa_private_segment_fixed_size 0
		.amdhsa_kernarg_size 44
		.amdhsa_user_sgpr_count 6
		.amdhsa_user_sgpr_private_segment_buffer 1
		.amdhsa_user_sgpr_dispatch_ptr 0
		.amdhsa_user_sgpr_queue_ptr 0
		.amdhsa_user_sgpr_kernarg_segment_ptr 1
		.amdhsa_user_sgpr_dispatch_id 0
		.amdhsa_user_sgpr_flat_scratch_init 0
		.amdhsa_user_sgpr_private_segment_size 0
		.amdhsa_wavefront_size32 1
		.amdhsa_uses_dynamic_stack 0
		.amdhsa_system_sgpr_private_segment_wavefront_offset 0
		.amdhsa_system_sgpr_workgroup_id_x 1
		.amdhsa_system_sgpr_workgroup_id_y 0
		.amdhsa_system_sgpr_workgroup_id_z 0
		.amdhsa_system_sgpr_workgroup_info 0
		.amdhsa_system_vgpr_workitem_id 0
		.amdhsa_next_free_vgpr 29
		.amdhsa_next_free_sgpr 28
		.amdhsa_reserve_vcc 1
		.amdhsa_reserve_flat_scratch 0
		.amdhsa_float_round_mode_32 0
		.amdhsa_float_round_mode_16_64 0
		.amdhsa_float_denorm_mode_32 3
		.amdhsa_float_denorm_mode_16_64 3
		.amdhsa_dx10_clamp 1
		.amdhsa_ieee_mode 1
		.amdhsa_fp16_overflow 0
		.amdhsa_workgroup_processor_mode 1
		.amdhsa_memory_ordered 1
		.amdhsa_forward_progress 1
		.amdhsa_shared_vgpr_count 0
		.amdhsa_exception_fp_ieee_invalid_op 0
		.amdhsa_exception_fp_denorm_src 0
		.amdhsa_exception_fp_ieee_div_zero 0
		.amdhsa_exception_fp_ieee_overflow 0
		.amdhsa_exception_fp_ieee_underflow 0
		.amdhsa_exception_fp_ieee_inexact 0
		.amdhsa_exception_int_div_zero 0
	.end_amdhsa_kernel
	.section	.text._ZN9rocsparseL28csrmmnn_general_block_reduceILj1024EiiffEEvT0_PKT1_PKT3_PT2_l16rocsparse_order_,"axG",@progbits,_ZN9rocsparseL28csrmmnn_general_block_reduceILj1024EiiffEEvT0_PKT1_PKT3_PT2_l16rocsparse_order_,comdat
.Lfunc_end3:
	.size	_ZN9rocsparseL28csrmmnn_general_block_reduceILj1024EiiffEEvT0_PKT1_PKT3_PT2_l16rocsparse_order_, .Lfunc_end3-_ZN9rocsparseL28csrmmnn_general_block_reduceILj1024EiiffEEvT0_PKT1_PKT3_PT2_l16rocsparse_order_
                                        ; -- End function
	.set _ZN9rocsparseL28csrmmnn_general_block_reduceILj1024EiiffEEvT0_PKT1_PKT3_PT2_l16rocsparse_order_.num_vgpr, 29
	.set _ZN9rocsparseL28csrmmnn_general_block_reduceILj1024EiiffEEvT0_PKT1_PKT3_PT2_l16rocsparse_order_.num_agpr, 0
	.set _ZN9rocsparseL28csrmmnn_general_block_reduceILj1024EiiffEEvT0_PKT1_PKT3_PT2_l16rocsparse_order_.numbered_sgpr, 28
	.set _ZN9rocsparseL28csrmmnn_general_block_reduceILj1024EiiffEEvT0_PKT1_PKT3_PT2_l16rocsparse_order_.num_named_barrier, 0
	.set _ZN9rocsparseL28csrmmnn_general_block_reduceILj1024EiiffEEvT0_PKT1_PKT3_PT2_l16rocsparse_order_.private_seg_size, 0
	.set _ZN9rocsparseL28csrmmnn_general_block_reduceILj1024EiiffEEvT0_PKT1_PKT3_PT2_l16rocsparse_order_.uses_vcc, 1
	.set _ZN9rocsparseL28csrmmnn_general_block_reduceILj1024EiiffEEvT0_PKT1_PKT3_PT2_l16rocsparse_order_.uses_flat_scratch, 0
	.set _ZN9rocsparseL28csrmmnn_general_block_reduceILj1024EiiffEEvT0_PKT1_PKT3_PT2_l16rocsparse_order_.has_dyn_sized_stack, 0
	.set _ZN9rocsparseL28csrmmnn_general_block_reduceILj1024EiiffEEvT0_PKT1_PKT3_PT2_l16rocsparse_order_.has_recursion, 0
	.set _ZN9rocsparseL28csrmmnn_general_block_reduceILj1024EiiffEEvT0_PKT1_PKT3_PT2_l16rocsparse_order_.has_indirect_call, 0
	.section	.AMDGPU.csdata,"",@progbits
; Kernel info:
; codeLenInByte = 1916
; TotalNumSgprs: 30
; NumVgprs: 29
; ScratchSize: 0
; MemoryBound: 0
; FloatMode: 240
; IeeeMode: 1
; LDSByteSize: 8192 bytes/workgroup (compile time only)
; SGPRBlocks: 0
; VGPRBlocks: 3
; NumSGPRsForWavesPerEU: 30
; NumVGPRsForWavesPerEU: 29
; Occupancy: 16
; WaveLimiterHint : 0
; COMPUTE_PGM_RSRC2:SCRATCH_EN: 0
; COMPUTE_PGM_RSRC2:USER_SGPR: 6
; COMPUTE_PGM_RSRC2:TRAP_HANDLER: 0
; COMPUTE_PGM_RSRC2:TGID_X_EN: 1
; COMPUTE_PGM_RSRC2:TGID_Y_EN: 0
; COMPUTE_PGM_RSRC2:TGID_Z_EN: 0
; COMPUTE_PGM_RSRC2:TIDIG_COMP_CNT: 0
	.section	.text._ZN9rocsparseL28csrmmnn_general_block_reduceILj1024EliffEEvT0_PKT1_PKT3_PT2_l16rocsparse_order_,"axG",@progbits,_ZN9rocsparseL28csrmmnn_general_block_reduceILj1024EliffEEvT0_PKT1_PKT3_PT2_l16rocsparse_order_,comdat
	.globl	_ZN9rocsparseL28csrmmnn_general_block_reduceILj1024EliffEEvT0_PKT1_PKT3_PT2_l16rocsparse_order_ ; -- Begin function _ZN9rocsparseL28csrmmnn_general_block_reduceILj1024EliffEEvT0_PKT1_PKT3_PT2_l16rocsparse_order_
	.p2align	8
	.type	_ZN9rocsparseL28csrmmnn_general_block_reduceILj1024EliffEEvT0_PKT1_PKT3_PT2_l16rocsparse_order_,@function
_ZN9rocsparseL28csrmmnn_general_block_reduceILj1024EliffEEvT0_PKT1_PKT3_PT2_l16rocsparse_order_: ; @_ZN9rocsparseL28csrmmnn_general_block_reduceILj1024EliffEEvT0_PKT1_PKT3_PT2_l16rocsparse_order_
; %bb.0:
	s_load_dwordx2 s[20:21], s[4:5], 0x0
	v_mov_b32_e32 v3, -1
	v_mov_b32_e32 v1, 0
	v_lshlrev_b32_e32 v10, 3, v0
	v_lshlrev_b32_e32 v2, 2, v0
	s_mov_b32 s0, exec_lo
	v_mov_b32_e32 v4, v3
	ds_write_b64 v10, v[3:4]
	ds_write_b32 v2, v1 offset:8192
	s_waitcnt lgkmcnt(0)
	s_barrier
	buffer_gl0_inv
	v_cmpx_gt_i64_e64 s[20:21], v[0:1]
	s_cbranch_execz .LBB4_50
; %bb.1:
	s_clause 0x1
	s_load_dwordx8 s[12:19], s[4:5], 0x8
	s_load_dword s11, s[4:5], 0x28
	s_mov_b32 s7, 0
	v_lshlrev_b32_e32 v4, 2, v0
	s_lshl_b64 s[8:9], s[6:7], 2
	v_or_b32_e32 v11, 0x2000, v2
	v_cmp_ne_u32_e64 s0, 0, v0
	v_add_nc_u32_e32 v12, -8, v10
	v_cmp_lt_u32_e64 s1, 1, v0
	v_add_nc_u32_e32 v13, -16, v10
	v_cmp_lt_u32_e64 s2, 3, v0
	v_subrev_nc_u32_e32 v14, 32, v10
	v_cmp_lt_u32_e64 s3, 7, v0
	v_subrev_nc_u32_e32 v15, 64, v10
	v_cmp_lt_u32_e64 s4, 15, v0
	v_add_nc_u32_e32 v16, 0xffffff80, v10
	v_add_nc_u32_e32 v17, -4, v11
	v_add_nc_u32_e32 v18, -8, v11
	v_add_nc_u32_e32 v19, -16, v11
	v_subrev_nc_u32_e32 v20, 32, v11
	s_waitcnt lgkmcnt(0)
	s_add_u32 s22, s16, s8
	s_addc_u32 s23, s17, s9
	s_cmp_lg_u32 s11, 1
	s_mul_i32 s11, s19, s6
	s_mul_hi_u32 s25, s18, s6
	s_cselect_b32 s24, -1, 0
	s_add_i32 s27, s25, s11
	s_mul_i32 s26, s18, s6
	s_mul_i32 s25, s21, s6
	s_lshl_b64 s[26:27], s[26:27], 2
	v_subrev_nc_u32_e32 v21, 64, v11
	s_add_u32 s16, s16, s26
	s_mul_hi_u32 s26, s20, s6
	s_addc_u32 s17, s17, s27
	s_add_i32 s27, s26, s25
	s_mul_i32 s26, s20, s6
	v_cmp_lt_u32_e64 s5, 31, v0
	s_lshl_b64 s[26:27], s[26:27], 2
	v_add_nc_u32_e32 v22, 0xffffff00, v10
	s_add_u32 s14, s14, s26
	s_addc_u32 s15, s15, s27
	v_add_co_u32 v2, s14, s14, v4
	v_add_co_u32 v4, s12, s12, v4
	v_add_nc_u32_e32 v23, 0xffffff80, v11
	v_cmp_lt_u32_e64 s8, 63, v0
	v_add_nc_u32_e32 v24, 0xfffffe00, v10
	v_add_nc_u32_e32 v25, 0xffffff00, v11
	v_cmp_lt_u32_e64 s9, 0x7f, v0
	v_add_nc_u32_e32 v26, 0xfffffc00, v10
	;; [unrolled: 3-line block ×4, first 2 shown]
	v_add_nc_u32_e32 v31, 0xfffff800, v11
	v_cmp_ne_u32_e64 s6, 0x3ff, v0
	v_add_co_ci_u32_e64 v3, null, s15, 0, s14
	v_add_co_ci_u32_e64 v5, null, s13, 0, s12
	s_branch .LBB4_3
.LBB4_2:                                ;   in Loop: Header=BB4_3 Depth=1
	s_or_b32 exec_lo, exec_lo, s12
	v_add_co_u32 v0, vcc_lo, 0x400, v0
	v_add_co_ci_u32_e64 v1, null, 0, v1, vcc_lo
	v_add_co_u32 v2, vcc_lo, 0x1000, v2
	v_add_co_ci_u32_e64 v3, null, 0, v3, vcc_lo
	v_cmp_le_i64_e32 vcc_lo, s[20:21], v[0:1]
	v_add_co_u32 v4, s12, 0x1000, v4
	v_add_co_ci_u32_e64 v5, null, 0, v5, s12
	s_waitcnt_vscnt null, 0x0
	s_or_b32 s7, vcc_lo, s7
	s_barrier
	buffer_gl0_inv
	s_andn2_b32 exec_lo, exec_lo, s7
	s_cbranch_execz .LBB4_50
.LBB4_3:                                ; =>This Inner Loop Header: Depth=1
	global_load_dword v8, v[4:5], off
	global_load_dword v32, v[2:3], off
	v_mov_b32_e32 v6, 0
	v_mov_b32_e32 v7, 0
	s_waitcnt vmcnt(1)
	v_ashrrev_i32_e32 v9, 31, v8
	s_waitcnt vmcnt(0)
	ds_write_b32 v11, v32
	ds_write_b64 v10, v[8:9]
	s_waitcnt lgkmcnt(0)
	s_barrier
	buffer_gl0_inv
	s_and_saveexec_b32 s12, s0
	s_cbranch_execz .LBB4_7
; %bb.4:                                ;   in Loop: Header=BB4_3 Depth=1
	ds_read2_b64 v[32:35], v12 offset1:1
	v_mov_b32_e32 v7, 0
	s_mov_b32 s13, exec_lo
	s_waitcnt lgkmcnt(0)
	v_cmpx_eq_u64_e64 v[34:35], v[32:33]
; %bb.5:                                ;   in Loop: Header=BB4_3 Depth=1
	ds_read_b32 v7, v17
; %bb.6:                                ;   in Loop: Header=BB4_3 Depth=1
	s_or_b32 exec_lo, exec_lo, s13
.LBB4_7:                                ;   in Loop: Header=BB4_3 Depth=1
	s_or_b32 exec_lo, exec_lo, s12
	s_waitcnt lgkmcnt(0)
	s_barrier
	buffer_gl0_inv
	ds_read_b32 v8, v11
	s_waitcnt lgkmcnt(0)
	v_add_f32_e32 v7, v7, v8
	ds_write_b32 v11, v7
	s_waitcnt lgkmcnt(0)
	s_barrier
	buffer_gl0_inv
	s_and_saveexec_b32 s12, s1
	s_cbranch_execz .LBB4_11
; %bb.8:                                ;   in Loop: Header=BB4_3 Depth=1
	ds_read_b64 v[6:7], v10
	ds_read_b64 v[8:9], v13
	s_waitcnt lgkmcnt(0)
	v_cmp_eq_u64_e32 vcc_lo, v[6:7], v[8:9]
	v_mov_b32_e32 v6, 0
	s_and_saveexec_b32 s13, vcc_lo
; %bb.9:                                ;   in Loop: Header=BB4_3 Depth=1
	ds_read_b32 v6, v18
; %bb.10:                               ;   in Loop: Header=BB4_3 Depth=1
	s_or_b32 exec_lo, exec_lo, s13
.LBB4_11:                               ;   in Loop: Header=BB4_3 Depth=1
	s_or_b32 exec_lo, exec_lo, s12
	s_waitcnt lgkmcnt(0)
	s_barrier
	buffer_gl0_inv
	ds_read_b32 v7, v11
	s_waitcnt lgkmcnt(0)
	v_add_f32_e32 v8, v6, v7
	v_mov_b32_e32 v6, 0
	v_mov_b32_e32 v7, 0
	ds_write_b32 v11, v8
	s_waitcnt lgkmcnt(0)
	s_barrier
	buffer_gl0_inv
	s_and_saveexec_b32 s12, s2
	s_cbranch_execz .LBB4_15
; %bb.12:                               ;   in Loop: Header=BB4_3 Depth=1
	ds_read_b64 v[7:8], v10
	ds_read_b64 v[32:33], v14
	s_waitcnt lgkmcnt(0)
	v_cmp_eq_u64_e32 vcc_lo, v[7:8], v[32:33]
	v_mov_b32_e32 v7, 0
	s_and_saveexec_b32 s13, vcc_lo
; %bb.13:                               ;   in Loop: Header=BB4_3 Depth=1
	ds_read_b32 v7, v19
; %bb.14:                               ;   in Loop: Header=BB4_3 Depth=1
	s_or_b32 exec_lo, exec_lo, s13
.LBB4_15:                               ;   in Loop: Header=BB4_3 Depth=1
	s_or_b32 exec_lo, exec_lo, s12
	s_waitcnt lgkmcnt(0)
	s_barrier
	buffer_gl0_inv
	ds_read_b32 v8, v11
	s_waitcnt lgkmcnt(0)
	v_add_f32_e32 v7, v7, v8
	ds_write_b32 v11, v7
	s_waitcnt lgkmcnt(0)
	s_barrier
	buffer_gl0_inv
	s_and_saveexec_b32 s12, s3
	s_cbranch_execz .LBB4_19
; %bb.16:                               ;   in Loop: Header=BB4_3 Depth=1
	ds_read_b64 v[6:7], v10
	ds_read_b64 v[8:9], v15
	s_waitcnt lgkmcnt(0)
	v_cmp_eq_u64_e32 vcc_lo, v[6:7], v[8:9]
	v_mov_b32_e32 v6, 0
	s_and_saveexec_b32 s13, vcc_lo
; %bb.17:                               ;   in Loop: Header=BB4_3 Depth=1
	ds_read_b32 v6, v20
; %bb.18:                               ;   in Loop: Header=BB4_3 Depth=1
	s_or_b32 exec_lo, exec_lo, s13
.LBB4_19:                               ;   in Loop: Header=BB4_3 Depth=1
	s_or_b32 exec_lo, exec_lo, s12
	s_waitcnt lgkmcnt(0)
	s_barrier
	buffer_gl0_inv
	ds_read_b32 v7, v11
	s_waitcnt lgkmcnt(0)
	v_add_f32_e32 v8, v6, v7
	v_mov_b32_e32 v6, 0
	v_mov_b32_e32 v7, 0
	ds_write_b32 v11, v8
	s_waitcnt lgkmcnt(0)
	s_barrier
	buffer_gl0_inv
	s_and_saveexec_b32 s12, s4
	s_cbranch_execz .LBB4_23
; %bb.20:                               ;   in Loop: Header=BB4_3 Depth=1
	ds_read_b64 v[7:8], v10
	ds_read_b64 v[32:33], v16
	s_waitcnt lgkmcnt(0)
	v_cmp_eq_u64_e32 vcc_lo, v[7:8], v[32:33]
	v_mov_b32_e32 v7, 0
	s_and_saveexec_b32 s13, vcc_lo
; %bb.21:                               ;   in Loop: Header=BB4_3 Depth=1
	ds_read_b32 v7, v21
; %bb.22:                               ;   in Loop: Header=BB4_3 Depth=1
	s_or_b32 exec_lo, exec_lo, s13
.LBB4_23:                               ;   in Loop: Header=BB4_3 Depth=1
	s_or_b32 exec_lo, exec_lo, s12
	s_waitcnt lgkmcnt(0)
	s_barrier
	buffer_gl0_inv
	ds_read_b32 v8, v11
	s_waitcnt lgkmcnt(0)
	v_add_f32_e32 v7, v7, v8
	ds_write_b32 v11, v7
	s_waitcnt lgkmcnt(0)
	s_barrier
	buffer_gl0_inv
	s_and_saveexec_b32 s12, s5
	s_cbranch_execz .LBB4_27
; %bb.24:                               ;   in Loop: Header=BB4_3 Depth=1
	ds_read_b64 v[6:7], v10
	ds_read_b64 v[8:9], v22
	s_waitcnt lgkmcnt(0)
	v_cmp_eq_u64_e32 vcc_lo, v[6:7], v[8:9]
	v_mov_b32_e32 v6, 0
	s_and_saveexec_b32 s13, vcc_lo
; %bb.25:                               ;   in Loop: Header=BB4_3 Depth=1
	ds_read_b32 v6, v23
; %bb.26:                               ;   in Loop: Header=BB4_3 Depth=1
	s_or_b32 exec_lo, exec_lo, s13
.LBB4_27:                               ;   in Loop: Header=BB4_3 Depth=1
	;; [unrolled: 52-line block ×4, first 2 shown]
	s_or_b32 exec_lo, exec_lo, s12
	s_waitcnt lgkmcnt(0)
	s_barrier
	buffer_gl0_inv
	ds_read_b32 v7, v11
	v_mov_b32_e32 v8, -1
	v_mov_b32_e32 v9, -1
	s_waitcnt lgkmcnt(0)
	v_add_f32_e32 v6, v6, v7
	ds_write_b32 v11, v6
	s_waitcnt lgkmcnt(0)
	s_barrier
	buffer_gl0_inv
	ds_read_b64 v[6:7], v10
	s_and_saveexec_b32 s12, s6
; %bb.44:                               ;   in Loop: Header=BB4_3 Depth=1
	ds_read_b64 v[8:9], v10 offset:8
; %bb.45:                               ;   in Loop: Header=BB4_3 Depth=1
	s_or_b32 exec_lo, exec_lo, s12
	s_waitcnt lgkmcnt(0)
	v_cmp_ne_u64_e32 vcc_lo, v[6:7], v[8:9]
	v_cmp_lt_i64_e64 s12, -1, v[6:7]
	s_and_b32 s13, s12, vcc_lo
	s_and_saveexec_b32 s12, s13
	s_cbranch_execz .LBB4_2
; %bb.46:                               ;   in Loop: Header=BB4_3 Depth=1
	s_and_b32 vcc_lo, exec_lo, s24
	s_mov_b32 s13, -1
	s_cbranch_vccz .LBB4_48
; %bb.47:                               ;   in Loop: Header=BB4_3 Depth=1
	v_mul_lo_u32 v32, v7, s18
	v_mul_lo_u32 v33, v6, s19
	v_mad_u64_u32 v[8:9], null, v6, s18, 0
	s_mov_b32 s13, 0
	v_add3_u32 v9, v9, v33, v32
	ds_read_b32 v33, v11
	v_lshlrev_b64 v[8:9], 2, v[8:9]
	v_add_co_u32 v8, vcc_lo, s22, v8
	v_add_co_ci_u32_e64 v9, null, s23, v9, vcc_lo
	global_load_dword v32, v[8:9], off
	s_waitcnt vmcnt(0) lgkmcnt(0)
	v_add_f32_e32 v32, v32, v33
	global_store_dword v[8:9], v32, off
.LBB4_48:                               ;   in Loop: Header=BB4_3 Depth=1
	s_andn2_b32 vcc_lo, exec_lo, s13
	s_cbranch_vccnz .LBB4_2
; %bb.49:                               ;   in Loop: Header=BB4_3 Depth=1
	v_lshlrev_b64 v[6:7], 2, v[6:7]
	ds_read_b32 v9, v11
	v_add_co_u32 v6, vcc_lo, s16, v6
	v_add_co_ci_u32_e64 v7, null, s17, v7, vcc_lo
	global_load_dword v8, v[6:7], off
	s_waitcnt vmcnt(0) lgkmcnt(0)
	v_add_f32_e32 v8, v8, v9
	global_store_dword v[6:7], v8, off
	s_branch .LBB4_2
.LBB4_50:
	s_endpgm
	.section	.rodata,"a",@progbits
	.p2align	6, 0x0
	.amdhsa_kernel _ZN9rocsparseL28csrmmnn_general_block_reduceILj1024EliffEEvT0_PKT1_PKT3_PT2_l16rocsparse_order_
		.amdhsa_group_segment_fixed_size 12288
		.amdhsa_private_segment_fixed_size 0
		.amdhsa_kernarg_size 44
		.amdhsa_user_sgpr_count 6
		.amdhsa_user_sgpr_private_segment_buffer 1
		.amdhsa_user_sgpr_dispatch_ptr 0
		.amdhsa_user_sgpr_queue_ptr 0
		.amdhsa_user_sgpr_kernarg_segment_ptr 1
		.amdhsa_user_sgpr_dispatch_id 0
		.amdhsa_user_sgpr_flat_scratch_init 0
		.amdhsa_user_sgpr_private_segment_size 0
		.amdhsa_wavefront_size32 1
		.amdhsa_uses_dynamic_stack 0
		.amdhsa_system_sgpr_private_segment_wavefront_offset 0
		.amdhsa_system_sgpr_workgroup_id_x 1
		.amdhsa_system_sgpr_workgroup_id_y 0
		.amdhsa_system_sgpr_workgroup_id_z 0
		.amdhsa_system_sgpr_workgroup_info 0
		.amdhsa_system_vgpr_workitem_id 0
		.amdhsa_next_free_vgpr 36
		.amdhsa_next_free_sgpr 28
		.amdhsa_reserve_vcc 1
		.amdhsa_reserve_flat_scratch 0
		.amdhsa_float_round_mode_32 0
		.amdhsa_float_round_mode_16_64 0
		.amdhsa_float_denorm_mode_32 3
		.amdhsa_float_denorm_mode_16_64 3
		.amdhsa_dx10_clamp 1
		.amdhsa_ieee_mode 1
		.amdhsa_fp16_overflow 0
		.amdhsa_workgroup_processor_mode 1
		.amdhsa_memory_ordered 1
		.amdhsa_forward_progress 1
		.amdhsa_shared_vgpr_count 0
		.amdhsa_exception_fp_ieee_invalid_op 0
		.amdhsa_exception_fp_denorm_src 0
		.amdhsa_exception_fp_ieee_div_zero 0
		.amdhsa_exception_fp_ieee_overflow 0
		.amdhsa_exception_fp_ieee_underflow 0
		.amdhsa_exception_fp_ieee_inexact 0
		.amdhsa_exception_int_div_zero 0
	.end_amdhsa_kernel
	.section	.text._ZN9rocsparseL28csrmmnn_general_block_reduceILj1024EliffEEvT0_PKT1_PKT3_PT2_l16rocsparse_order_,"axG",@progbits,_ZN9rocsparseL28csrmmnn_general_block_reduceILj1024EliffEEvT0_PKT1_PKT3_PT2_l16rocsparse_order_,comdat
.Lfunc_end4:
	.size	_ZN9rocsparseL28csrmmnn_general_block_reduceILj1024EliffEEvT0_PKT1_PKT3_PT2_l16rocsparse_order_, .Lfunc_end4-_ZN9rocsparseL28csrmmnn_general_block_reduceILj1024EliffEEvT0_PKT1_PKT3_PT2_l16rocsparse_order_
                                        ; -- End function
	.set _ZN9rocsparseL28csrmmnn_general_block_reduceILj1024EliffEEvT0_PKT1_PKT3_PT2_l16rocsparse_order_.num_vgpr, 36
	.set _ZN9rocsparseL28csrmmnn_general_block_reduceILj1024EliffEEvT0_PKT1_PKT3_PT2_l16rocsparse_order_.num_agpr, 0
	.set _ZN9rocsparseL28csrmmnn_general_block_reduceILj1024EliffEEvT0_PKT1_PKT3_PT2_l16rocsparse_order_.numbered_sgpr, 28
	.set _ZN9rocsparseL28csrmmnn_general_block_reduceILj1024EliffEEvT0_PKT1_PKT3_PT2_l16rocsparse_order_.num_named_barrier, 0
	.set _ZN9rocsparseL28csrmmnn_general_block_reduceILj1024EliffEEvT0_PKT1_PKT3_PT2_l16rocsparse_order_.private_seg_size, 0
	.set _ZN9rocsparseL28csrmmnn_general_block_reduceILj1024EliffEEvT0_PKT1_PKT3_PT2_l16rocsparse_order_.uses_vcc, 1
	.set _ZN9rocsparseL28csrmmnn_general_block_reduceILj1024EliffEEvT0_PKT1_PKT3_PT2_l16rocsparse_order_.uses_flat_scratch, 0
	.set _ZN9rocsparseL28csrmmnn_general_block_reduceILj1024EliffEEvT0_PKT1_PKT3_PT2_l16rocsparse_order_.has_dyn_sized_stack, 0
	.set _ZN9rocsparseL28csrmmnn_general_block_reduceILj1024EliffEEvT0_PKT1_PKT3_PT2_l16rocsparse_order_.has_recursion, 0
	.set _ZN9rocsparseL28csrmmnn_general_block_reduceILj1024EliffEEvT0_PKT1_PKT3_PT2_l16rocsparse_order_.has_indirect_call, 0
	.section	.AMDGPU.csdata,"",@progbits
; Kernel info:
; codeLenInByte = 2004
; TotalNumSgprs: 30
; NumVgprs: 36
; ScratchSize: 0
; MemoryBound: 0
; FloatMode: 240
; IeeeMode: 1
; LDSByteSize: 12288 bytes/workgroup (compile time only)
; SGPRBlocks: 0
; VGPRBlocks: 4
; NumSGPRsForWavesPerEU: 30
; NumVGPRsForWavesPerEU: 36
; Occupancy: 16
; WaveLimiterHint : 0
; COMPUTE_PGM_RSRC2:SCRATCH_EN: 0
; COMPUTE_PGM_RSRC2:USER_SGPR: 6
; COMPUTE_PGM_RSRC2:TRAP_HANDLER: 0
; COMPUTE_PGM_RSRC2:TGID_X_EN: 1
; COMPUTE_PGM_RSRC2:TGID_Y_EN: 0
; COMPUTE_PGM_RSRC2:TGID_Z_EN: 0
; COMPUTE_PGM_RSRC2:TIDIG_COMP_CNT: 0
	.section	.text._ZN9rocsparseL28csrmmnn_general_block_reduceILj1024EllffEEvT0_PKT1_PKT3_PT2_l16rocsparse_order_,"axG",@progbits,_ZN9rocsparseL28csrmmnn_general_block_reduceILj1024EllffEEvT0_PKT1_PKT3_PT2_l16rocsparse_order_,comdat
	.globl	_ZN9rocsparseL28csrmmnn_general_block_reduceILj1024EllffEEvT0_PKT1_PKT3_PT2_l16rocsparse_order_ ; -- Begin function _ZN9rocsparseL28csrmmnn_general_block_reduceILj1024EllffEEvT0_PKT1_PKT3_PT2_l16rocsparse_order_
	.p2align	8
	.type	_ZN9rocsparseL28csrmmnn_general_block_reduceILj1024EllffEEvT0_PKT1_PKT3_PT2_l16rocsparse_order_,@function
_ZN9rocsparseL28csrmmnn_general_block_reduceILj1024EllffEEvT0_PKT1_PKT3_PT2_l16rocsparse_order_: ; @_ZN9rocsparseL28csrmmnn_general_block_reduceILj1024EllffEEvT0_PKT1_PKT3_PT2_l16rocsparse_order_
; %bb.0:
	s_load_dwordx2 s[20:21], s[4:5], 0x0
	v_mov_b32_e32 v3, -1
	v_mov_b32_e32 v1, 0
	v_lshlrev_b32_e32 v10, 3, v0
	v_lshlrev_b32_e32 v2, 2, v0
	s_mov_b32 s0, exec_lo
	v_mov_b32_e32 v4, v3
	ds_write_b64 v10, v[3:4]
	ds_write_b32 v2, v1 offset:8192
	s_waitcnt lgkmcnt(0)
	s_barrier
	buffer_gl0_inv
	v_cmpx_gt_i64_e64 s[20:21], v[0:1]
	s_cbranch_execz .LBB5_50
; %bb.1:
	s_clause 0x1
	s_load_dwordx8 s[12:19], s[4:5], 0x8
	s_load_dword s24, s[4:5], 0x28
	s_mov_b32 s7, 0
	v_or_b32_e32 v11, 0x2000, v2
	s_lshl_b64 s[8:9], s[6:7], 2
	v_lshlrev_b32_e32 v2, 2, v0
	v_lshlrev_b32_e32 v4, 3, v0
	v_cmp_ne_u32_e64 s0, 0, v0
	v_add_nc_u32_e32 v12, -8, v10
	v_cmp_lt_u32_e64 s1, 1, v0
	v_add_nc_u32_e32 v13, -16, v10
	v_cmp_lt_u32_e64 s2, 3, v0
	v_subrev_nc_u32_e32 v14, 32, v10
	v_cmp_lt_u32_e64 s3, 7, v0
	v_subrev_nc_u32_e32 v15, 64, v10
	v_cmp_lt_u32_e64 s4, 15, v0
	v_add_nc_u32_e32 v16, 0xffffff80, v10
	v_add_nc_u32_e32 v17, -4, v11
	v_add_nc_u32_e32 v18, -8, v11
	;; [unrolled: 1-line block ×3, first 2 shown]
	s_waitcnt lgkmcnt(0)
	s_add_u32 s22, s16, s8
	s_addc_u32 s23, s17, s9
	s_cmp_lg_u32 s24, 1
	s_mul_i32 s25, s19, s6
	s_mul_hi_u32 s26, s18, s6
	s_cselect_b32 s24, -1, 0
	s_add_i32 s27, s26, s25
	s_mul_i32 s26, s18, s6
	s_mul_i32 s25, s21, s6
	s_lshl_b64 s[26:27], s[26:27], 2
	v_add_co_u32 v4, s12, s12, v4
	s_add_u32 s16, s16, s26
	s_mul_hi_u32 s26, s20, s6
	s_addc_u32 s17, s17, s27
	s_add_i32 s27, s26, s25
	s_mul_i32 s26, s20, s6
	v_subrev_nc_u32_e32 v20, 32, v11
	s_lshl_b64 s[26:27], s[26:27], 2
	v_subrev_nc_u32_e32 v21, 64, v11
	s_add_u32 s14, s14, s26
	s_addc_u32 s15, s15, s27
	v_add_co_u32 v2, s14, s14, v2
	v_cmp_lt_u32_e64 s5, 31, v0
	v_add_nc_u32_e32 v22, 0xffffff00, v10
	v_add_nc_u32_e32 v23, 0xffffff80, v11
	v_cmp_lt_u32_e64 s8, 63, v0
	v_add_nc_u32_e32 v24, 0xfffffe00, v10
	v_add_nc_u32_e32 v25, 0xffffff00, v11
	;; [unrolled: 3-line block ×5, first 2 shown]
	v_cmp_ne_u32_e64 s6, 0x3ff, v0
	v_add_co_ci_u32_e64 v3, null, s15, 0, s14
	v_add_co_ci_u32_e64 v5, null, s13, 0, s12
	s_branch .LBB5_3
.LBB5_2:                                ;   in Loop: Header=BB5_3 Depth=1
	s_or_b32 exec_lo, exec_lo, s12
	v_add_co_u32 v0, vcc_lo, 0x400, v0
	v_add_co_ci_u32_e64 v1, null, 0, v1, vcc_lo
	v_add_co_u32 v2, vcc_lo, 0x1000, v2
	v_add_co_ci_u32_e64 v3, null, 0, v3, vcc_lo
	v_cmp_le_i64_e32 vcc_lo, s[20:21], v[0:1]
	v_add_co_u32 v4, s12, 0x2000, v4
	v_add_co_ci_u32_e64 v5, null, 0, v5, s12
	s_waitcnt_vscnt null, 0x0
	s_or_b32 s7, vcc_lo, s7
	s_barrier
	buffer_gl0_inv
	s_andn2_b32 exec_lo, exec_lo, s7
	s_cbranch_execz .LBB5_50
.LBB5_3:                                ; =>This Inner Loop Header: Depth=1
	global_load_dwordx2 v[8:9], v[4:5], off
	global_load_dword v32, v[2:3], off
	v_mov_b32_e32 v6, 0
	v_mov_b32_e32 v7, 0
	s_waitcnt vmcnt(1)
	ds_write_b64 v10, v[8:9]
	s_waitcnt vmcnt(0)
	ds_write_b32 v11, v32
	s_waitcnt lgkmcnt(0)
	s_barrier
	buffer_gl0_inv
	s_and_saveexec_b32 s12, s0
	s_cbranch_execz .LBB5_7
; %bb.4:                                ;   in Loop: Header=BB5_3 Depth=1
	ds_read2_b64 v[32:35], v12 offset1:1
	v_mov_b32_e32 v7, 0
	s_mov_b32 s13, exec_lo
	s_waitcnt lgkmcnt(0)
	v_cmpx_eq_u64_e64 v[34:35], v[32:33]
; %bb.5:                                ;   in Loop: Header=BB5_3 Depth=1
	ds_read_b32 v7, v17
; %bb.6:                                ;   in Loop: Header=BB5_3 Depth=1
	s_or_b32 exec_lo, exec_lo, s13
.LBB5_7:                                ;   in Loop: Header=BB5_3 Depth=1
	s_or_b32 exec_lo, exec_lo, s12
	s_waitcnt lgkmcnt(0)
	s_barrier
	buffer_gl0_inv
	ds_read_b32 v8, v11
	s_waitcnt lgkmcnt(0)
	v_add_f32_e32 v7, v7, v8
	ds_write_b32 v11, v7
	s_waitcnt lgkmcnt(0)
	s_barrier
	buffer_gl0_inv
	s_and_saveexec_b32 s12, s1
	s_cbranch_execz .LBB5_11
; %bb.8:                                ;   in Loop: Header=BB5_3 Depth=1
	ds_read_b64 v[6:7], v10
	ds_read_b64 v[8:9], v13
	s_waitcnt lgkmcnt(0)
	v_cmp_eq_u64_e32 vcc_lo, v[6:7], v[8:9]
	v_mov_b32_e32 v6, 0
	s_and_saveexec_b32 s13, vcc_lo
; %bb.9:                                ;   in Loop: Header=BB5_3 Depth=1
	ds_read_b32 v6, v18
; %bb.10:                               ;   in Loop: Header=BB5_3 Depth=1
	s_or_b32 exec_lo, exec_lo, s13
.LBB5_11:                               ;   in Loop: Header=BB5_3 Depth=1
	s_or_b32 exec_lo, exec_lo, s12
	s_waitcnt lgkmcnt(0)
	s_barrier
	buffer_gl0_inv
	ds_read_b32 v7, v11
	s_waitcnt lgkmcnt(0)
	v_add_f32_e32 v8, v6, v7
	v_mov_b32_e32 v6, 0
	v_mov_b32_e32 v7, 0
	ds_write_b32 v11, v8
	s_waitcnt lgkmcnt(0)
	s_barrier
	buffer_gl0_inv
	s_and_saveexec_b32 s12, s2
	s_cbranch_execz .LBB5_15
; %bb.12:                               ;   in Loop: Header=BB5_3 Depth=1
	ds_read_b64 v[7:8], v10
	ds_read_b64 v[32:33], v14
	s_waitcnt lgkmcnt(0)
	v_cmp_eq_u64_e32 vcc_lo, v[7:8], v[32:33]
	v_mov_b32_e32 v7, 0
	s_and_saveexec_b32 s13, vcc_lo
; %bb.13:                               ;   in Loop: Header=BB5_3 Depth=1
	ds_read_b32 v7, v19
; %bb.14:                               ;   in Loop: Header=BB5_3 Depth=1
	s_or_b32 exec_lo, exec_lo, s13
.LBB5_15:                               ;   in Loop: Header=BB5_3 Depth=1
	s_or_b32 exec_lo, exec_lo, s12
	s_waitcnt lgkmcnt(0)
	s_barrier
	buffer_gl0_inv
	ds_read_b32 v8, v11
	s_waitcnt lgkmcnt(0)
	v_add_f32_e32 v7, v7, v8
	ds_write_b32 v11, v7
	s_waitcnt lgkmcnt(0)
	s_barrier
	buffer_gl0_inv
	s_and_saveexec_b32 s12, s3
	s_cbranch_execz .LBB5_19
; %bb.16:                               ;   in Loop: Header=BB5_3 Depth=1
	ds_read_b64 v[6:7], v10
	ds_read_b64 v[8:9], v15
	s_waitcnt lgkmcnt(0)
	v_cmp_eq_u64_e32 vcc_lo, v[6:7], v[8:9]
	v_mov_b32_e32 v6, 0
	s_and_saveexec_b32 s13, vcc_lo
; %bb.17:                               ;   in Loop: Header=BB5_3 Depth=1
	ds_read_b32 v6, v20
; %bb.18:                               ;   in Loop: Header=BB5_3 Depth=1
	s_or_b32 exec_lo, exec_lo, s13
.LBB5_19:                               ;   in Loop: Header=BB5_3 Depth=1
	s_or_b32 exec_lo, exec_lo, s12
	s_waitcnt lgkmcnt(0)
	s_barrier
	buffer_gl0_inv
	ds_read_b32 v7, v11
	s_waitcnt lgkmcnt(0)
	v_add_f32_e32 v8, v6, v7
	v_mov_b32_e32 v6, 0
	v_mov_b32_e32 v7, 0
	ds_write_b32 v11, v8
	s_waitcnt lgkmcnt(0)
	s_barrier
	buffer_gl0_inv
	s_and_saveexec_b32 s12, s4
	s_cbranch_execz .LBB5_23
; %bb.20:                               ;   in Loop: Header=BB5_3 Depth=1
	ds_read_b64 v[7:8], v10
	ds_read_b64 v[32:33], v16
	s_waitcnt lgkmcnt(0)
	v_cmp_eq_u64_e32 vcc_lo, v[7:8], v[32:33]
	v_mov_b32_e32 v7, 0
	s_and_saveexec_b32 s13, vcc_lo
; %bb.21:                               ;   in Loop: Header=BB5_3 Depth=1
	ds_read_b32 v7, v21
; %bb.22:                               ;   in Loop: Header=BB5_3 Depth=1
	s_or_b32 exec_lo, exec_lo, s13
.LBB5_23:                               ;   in Loop: Header=BB5_3 Depth=1
	s_or_b32 exec_lo, exec_lo, s12
	s_waitcnt lgkmcnt(0)
	s_barrier
	buffer_gl0_inv
	ds_read_b32 v8, v11
	s_waitcnt lgkmcnt(0)
	v_add_f32_e32 v7, v7, v8
	ds_write_b32 v11, v7
	s_waitcnt lgkmcnt(0)
	s_barrier
	buffer_gl0_inv
	s_and_saveexec_b32 s12, s5
	s_cbranch_execz .LBB5_27
; %bb.24:                               ;   in Loop: Header=BB5_3 Depth=1
	ds_read_b64 v[6:7], v10
	ds_read_b64 v[8:9], v22
	s_waitcnt lgkmcnt(0)
	v_cmp_eq_u64_e32 vcc_lo, v[6:7], v[8:9]
	v_mov_b32_e32 v6, 0
	s_and_saveexec_b32 s13, vcc_lo
; %bb.25:                               ;   in Loop: Header=BB5_3 Depth=1
	ds_read_b32 v6, v23
; %bb.26:                               ;   in Loop: Header=BB5_3 Depth=1
	s_or_b32 exec_lo, exec_lo, s13
.LBB5_27:                               ;   in Loop: Header=BB5_3 Depth=1
	;; [unrolled: 52-line block ×4, first 2 shown]
	s_or_b32 exec_lo, exec_lo, s12
	s_waitcnt lgkmcnt(0)
	s_barrier
	buffer_gl0_inv
	ds_read_b32 v7, v11
	v_mov_b32_e32 v8, -1
	v_mov_b32_e32 v9, -1
	s_waitcnt lgkmcnt(0)
	v_add_f32_e32 v6, v6, v7
	ds_write_b32 v11, v6
	s_waitcnt lgkmcnt(0)
	s_barrier
	buffer_gl0_inv
	ds_read_b64 v[6:7], v10
	s_and_saveexec_b32 s12, s6
; %bb.44:                               ;   in Loop: Header=BB5_3 Depth=1
	ds_read_b64 v[8:9], v10 offset:8
; %bb.45:                               ;   in Loop: Header=BB5_3 Depth=1
	s_or_b32 exec_lo, exec_lo, s12
	s_waitcnt lgkmcnt(0)
	v_cmp_ne_u64_e32 vcc_lo, v[6:7], v[8:9]
	v_cmp_lt_i64_e64 s12, -1, v[6:7]
	s_and_b32 s13, s12, vcc_lo
	s_and_saveexec_b32 s12, s13
	s_cbranch_execz .LBB5_2
; %bb.46:                               ;   in Loop: Header=BB5_3 Depth=1
	s_and_b32 vcc_lo, exec_lo, s24
	s_mov_b32 s13, -1
	s_cbranch_vccz .LBB5_48
; %bb.47:                               ;   in Loop: Header=BB5_3 Depth=1
	v_mul_lo_u32 v32, v7, s18
	v_mul_lo_u32 v33, v6, s19
	v_mad_u64_u32 v[8:9], null, v6, s18, 0
	s_mov_b32 s13, 0
	v_add3_u32 v9, v9, v33, v32
	ds_read_b32 v33, v11
	v_lshlrev_b64 v[8:9], 2, v[8:9]
	v_add_co_u32 v8, vcc_lo, s22, v8
	v_add_co_ci_u32_e64 v9, null, s23, v9, vcc_lo
	global_load_dword v32, v[8:9], off
	s_waitcnt vmcnt(0) lgkmcnt(0)
	v_add_f32_e32 v32, v32, v33
	global_store_dword v[8:9], v32, off
.LBB5_48:                               ;   in Loop: Header=BB5_3 Depth=1
	s_andn2_b32 vcc_lo, exec_lo, s13
	s_cbranch_vccnz .LBB5_2
; %bb.49:                               ;   in Loop: Header=BB5_3 Depth=1
	v_lshlrev_b64 v[6:7], 2, v[6:7]
	ds_read_b32 v9, v11
	v_add_co_u32 v6, vcc_lo, s16, v6
	v_add_co_ci_u32_e64 v7, null, s17, v7, vcc_lo
	global_load_dword v8, v[6:7], off
	s_waitcnt vmcnt(0) lgkmcnt(0)
	v_add_f32_e32 v8, v8, v9
	global_store_dword v[6:7], v8, off
	s_branch .LBB5_2
.LBB5_50:
	s_endpgm
	.section	.rodata,"a",@progbits
	.p2align	6, 0x0
	.amdhsa_kernel _ZN9rocsparseL28csrmmnn_general_block_reduceILj1024EllffEEvT0_PKT1_PKT3_PT2_l16rocsparse_order_
		.amdhsa_group_segment_fixed_size 12288
		.amdhsa_private_segment_fixed_size 0
		.amdhsa_kernarg_size 44
		.amdhsa_user_sgpr_count 6
		.amdhsa_user_sgpr_private_segment_buffer 1
		.amdhsa_user_sgpr_dispatch_ptr 0
		.amdhsa_user_sgpr_queue_ptr 0
		.amdhsa_user_sgpr_kernarg_segment_ptr 1
		.amdhsa_user_sgpr_dispatch_id 0
		.amdhsa_user_sgpr_flat_scratch_init 0
		.amdhsa_user_sgpr_private_segment_size 0
		.amdhsa_wavefront_size32 1
		.amdhsa_uses_dynamic_stack 0
		.amdhsa_system_sgpr_private_segment_wavefront_offset 0
		.amdhsa_system_sgpr_workgroup_id_x 1
		.amdhsa_system_sgpr_workgroup_id_y 0
		.amdhsa_system_sgpr_workgroup_id_z 0
		.amdhsa_system_sgpr_workgroup_info 0
		.amdhsa_system_vgpr_workitem_id 0
		.amdhsa_next_free_vgpr 36
		.amdhsa_next_free_sgpr 28
		.amdhsa_reserve_vcc 1
		.amdhsa_reserve_flat_scratch 0
		.amdhsa_float_round_mode_32 0
		.amdhsa_float_round_mode_16_64 0
		.amdhsa_float_denorm_mode_32 3
		.amdhsa_float_denorm_mode_16_64 3
		.amdhsa_dx10_clamp 1
		.amdhsa_ieee_mode 1
		.amdhsa_fp16_overflow 0
		.amdhsa_workgroup_processor_mode 1
		.amdhsa_memory_ordered 1
		.amdhsa_forward_progress 1
		.amdhsa_shared_vgpr_count 0
		.amdhsa_exception_fp_ieee_invalid_op 0
		.amdhsa_exception_fp_denorm_src 0
		.amdhsa_exception_fp_ieee_div_zero 0
		.amdhsa_exception_fp_ieee_overflow 0
		.amdhsa_exception_fp_ieee_underflow 0
		.amdhsa_exception_fp_ieee_inexact 0
		.amdhsa_exception_int_div_zero 0
	.end_amdhsa_kernel
	.section	.text._ZN9rocsparseL28csrmmnn_general_block_reduceILj1024EllffEEvT0_PKT1_PKT3_PT2_l16rocsparse_order_,"axG",@progbits,_ZN9rocsparseL28csrmmnn_general_block_reduceILj1024EllffEEvT0_PKT1_PKT3_PT2_l16rocsparse_order_,comdat
.Lfunc_end5:
	.size	_ZN9rocsparseL28csrmmnn_general_block_reduceILj1024EllffEEvT0_PKT1_PKT3_PT2_l16rocsparse_order_, .Lfunc_end5-_ZN9rocsparseL28csrmmnn_general_block_reduceILj1024EllffEEvT0_PKT1_PKT3_PT2_l16rocsparse_order_
                                        ; -- End function
	.set _ZN9rocsparseL28csrmmnn_general_block_reduceILj1024EllffEEvT0_PKT1_PKT3_PT2_l16rocsparse_order_.num_vgpr, 36
	.set _ZN9rocsparseL28csrmmnn_general_block_reduceILj1024EllffEEvT0_PKT1_PKT3_PT2_l16rocsparse_order_.num_agpr, 0
	.set _ZN9rocsparseL28csrmmnn_general_block_reduceILj1024EllffEEvT0_PKT1_PKT3_PT2_l16rocsparse_order_.numbered_sgpr, 28
	.set _ZN9rocsparseL28csrmmnn_general_block_reduceILj1024EllffEEvT0_PKT1_PKT3_PT2_l16rocsparse_order_.num_named_barrier, 0
	.set _ZN9rocsparseL28csrmmnn_general_block_reduceILj1024EllffEEvT0_PKT1_PKT3_PT2_l16rocsparse_order_.private_seg_size, 0
	.set _ZN9rocsparseL28csrmmnn_general_block_reduceILj1024EllffEEvT0_PKT1_PKT3_PT2_l16rocsparse_order_.uses_vcc, 1
	.set _ZN9rocsparseL28csrmmnn_general_block_reduceILj1024EllffEEvT0_PKT1_PKT3_PT2_l16rocsparse_order_.uses_flat_scratch, 0
	.set _ZN9rocsparseL28csrmmnn_general_block_reduceILj1024EllffEEvT0_PKT1_PKT3_PT2_l16rocsparse_order_.has_dyn_sized_stack, 0
	.set _ZN9rocsparseL28csrmmnn_general_block_reduceILj1024EllffEEvT0_PKT1_PKT3_PT2_l16rocsparse_order_.has_recursion, 0
	.set _ZN9rocsparseL28csrmmnn_general_block_reduceILj1024EllffEEvT0_PKT1_PKT3_PT2_l16rocsparse_order_.has_indirect_call, 0
	.section	.AMDGPU.csdata,"",@progbits
; Kernel info:
; codeLenInByte = 2004
; TotalNumSgprs: 30
; NumVgprs: 36
; ScratchSize: 0
; MemoryBound: 0
; FloatMode: 240
; IeeeMode: 1
; LDSByteSize: 12288 bytes/workgroup (compile time only)
; SGPRBlocks: 0
; VGPRBlocks: 4
; NumSGPRsForWavesPerEU: 30
; NumVGPRsForWavesPerEU: 36
; Occupancy: 16
; WaveLimiterHint : 0
; COMPUTE_PGM_RSRC2:SCRATCH_EN: 0
; COMPUTE_PGM_RSRC2:USER_SGPR: 6
; COMPUTE_PGM_RSRC2:TRAP_HANDLER: 0
; COMPUTE_PGM_RSRC2:TGID_X_EN: 1
; COMPUTE_PGM_RSRC2:TGID_Y_EN: 0
; COMPUTE_PGM_RSRC2:TGID_Z_EN: 0
; COMPUTE_PGM_RSRC2:TIDIG_COMP_CNT: 0
	.section	.text._ZN9rocsparseL28csrmmnn_general_block_reduceILj1024EiiddEEvT0_PKT1_PKT3_PT2_l16rocsparse_order_,"axG",@progbits,_ZN9rocsparseL28csrmmnn_general_block_reduceILj1024EiiddEEvT0_PKT1_PKT3_PT2_l16rocsparse_order_,comdat
	.globl	_ZN9rocsparseL28csrmmnn_general_block_reduceILj1024EiiddEEvT0_PKT1_PKT3_PT2_l16rocsparse_order_ ; -- Begin function _ZN9rocsparseL28csrmmnn_general_block_reduceILj1024EiiddEEvT0_PKT1_PKT3_PT2_l16rocsparse_order_
	.p2align	8
	.type	_ZN9rocsparseL28csrmmnn_general_block_reduceILj1024EiiddEEvT0_PKT1_PKT3_PT2_l16rocsparse_order_,@function
_ZN9rocsparseL28csrmmnn_general_block_reduceILj1024EiiddEEvT0_PKT1_PKT3_PT2_l16rocsparse_order_: ; @_ZN9rocsparseL28csrmmnn_general_block_reduceILj1024EiiddEEvT0_PKT1_PKT3_PT2_l16rocsparse_order_
; %bb.0:
	s_load_dword s20, s[4:5], 0x0
	v_mov_b32_e32 v2, 0
	v_lshlrev_b32_e32 v3, 2, v0
	v_mov_b32_e32 v4, -1
	v_lshlrev_b32_e32 v7, 3, v0
	s_mov_b32 s21, 0
	v_mov_b32_e32 v1, v2
	s_mov_b32 s0, exec_lo
	ds_write_b32 v3, v4 offset:8192
	ds_write_b64 v7, v[1:2]
	s_waitcnt lgkmcnt(0)
	s_barrier
	buffer_gl0_inv
	v_cmpx_gt_i32_e64 s20, v0
	s_cbranch_execz .LBB6_50
; %bb.1:
	s_clause 0x1
	s_load_dwordx8 s[12:19], s[4:5], 0x8
	s_load_dword s7, s[4:5], 0x28
	v_or_b32_e32 v8, 0x2000, v3
	v_cmp_ne_u32_e64 s0, 0, v0
	v_add_nc_u32_e32 v9, -8, v7
	v_cmp_lt_u32_e64 s1, 1, v0
	v_add_nc_u32_e32 v12, -16, v7
	v_add_nc_u32_e32 v10, -4, v8
	;; [unrolled: 1-line block ×3, first 2 shown]
	v_cmp_lt_u32_e64 s2, 3, v0
	v_add_nc_u32_e32 v13, -16, v8
	v_subrev_nc_u32_e32 v14, 32, v7
	v_cmp_lt_u32_e64 s3, 7, v0
	v_subrev_nc_u32_e32 v15, 32, v8
	v_subrev_nc_u32_e32 v16, 64, v7
	v_cmp_lt_u32_e64 s4, 15, v0
	v_subrev_nc_u32_e32 v17, 64, v8
	v_add_nc_u32_e32 v18, 0xffffff80, v7
	v_cmp_lt_u32_e64 s5, 31, v0
	v_add_nc_u32_e32 v19, 0xffffff80, v8
	s_waitcnt lgkmcnt(0)
	s_mul_hi_u32 s26, s18, s6
	s_cmp_lg_u32 s7, 1
	v_add_nc_u32_e32 v20, 0xffffff00, v7
	s_cselect_b32 s22, -1, 0
	s_ashr_i32 s7, s6, 31
	v_cmp_lt_u32_e64 s8, 63, v0
	s_lshl_b64 s[24:25], s[6:7], 3
	s_mul_i32 s7, s18, s7
	s_add_u32 s23, s16, s24
	s_addc_u32 s24, s17, s25
	s_add_i32 s7, s26, s7
	s_mul_i32 s25, s19, s6
	s_mul_i32 s26, s18, s6
	s_add_i32 s27, s7, s25
	v_add_nc_u32_e32 v21, 0xffffff00, v8
	v_add_nc_u32_e32 v22, 0xfffffe00, v7
	v_cmp_lt_u32_e64 s9, 0x7f, v0
	v_add_nc_u32_e32 v23, 0xfffffe00, v8
	v_add_nc_u32_e32 v24, 0xfffffc00, v7
	v_cmp_lt_u32_e64 s10, 0xff, v0
	;; [unrolled: 3-line block ×3, first 2 shown]
	v_add_nc_u32_e32 v27, 0xfffff800, v8
	v_add_nc_u32_e32 v28, 0xfffff000, v7
	v_cmp_ne_u32_e64 s7, 0x3ff, v0
	s_lshl_b64 s[26:27], s[26:27], 3
	s_mul_i32 s25, s20, s6
	s_add_u32 s16, s16, s26
	s_addc_u32 s17, s17, s27
	s_branch .LBB6_3
.LBB6_2:                                ;   in Loop: Header=BB6_3 Depth=1
	s_or_b32 exec_lo, exec_lo, s6
	v_add_nc_u32_e32 v0, 0x400, v0
	s_waitcnt_vscnt null, 0x0
	s_barrier
	buffer_gl0_inv
	v_cmp_le_i32_e32 vcc_lo, s20, v0
	s_or_b32 s21, vcc_lo, s21
	s_andn2_b32 exec_lo, exec_lo, s21
	s_cbranch_execz .LBB6_50
.LBB6_3:                                ; =>This Inner Loop Header: Depth=1
	v_add_nc_u32_e32 v3, s25, v0
	v_ashrrev_i32_e32 v1, 31, v0
	v_ashrrev_i32_e32 v4, 31, v3
	v_lshlrev_b64 v[5:6], 2, v[0:1]
	v_lshlrev_b64 v[3:4], 3, v[3:4]
	v_add_co_u32 v5, vcc_lo, s12, v5
	v_add_co_ci_u32_e64 v6, null, s13, v6, vcc_lo
	v_add_co_u32 v3, vcc_lo, s14, v3
	v_add_co_ci_u32_e64 v4, null, s15, v4, vcc_lo
	global_load_dword v1, v[5:6], off
	global_load_dwordx2 v[29:30], v[3:4], off
	v_mov_b32_e32 v3, 0
	v_mov_b32_e32 v5, 0
	;; [unrolled: 1-line block ×4, first 2 shown]
	s_waitcnt vmcnt(1)
	ds_write_b32 v8, v1
	s_waitcnt vmcnt(0)
	ds_write_b64 v7, v[29:30]
	s_waitcnt lgkmcnt(0)
	s_barrier
	buffer_gl0_inv
	s_and_saveexec_b32 s6, s0
	s_cbranch_execz .LBB6_7
; %bb.4:                                ;   in Loop: Header=BB6_3 Depth=1
	ds_read2_b32 v[29:30], v10 offset1:1
	v_mov_b32_e32 v5, 0
	v_mov_b32_e32 v6, 0
	s_mov_b32 s26, exec_lo
	s_waitcnt lgkmcnt(0)
	v_cmpx_eq_u32_e64 v30, v29
; %bb.5:                                ;   in Loop: Header=BB6_3 Depth=1
	ds_read_b64 v[5:6], v9
; %bb.6:                                ;   in Loop: Header=BB6_3 Depth=1
	s_or_b32 exec_lo, exec_lo, s26
.LBB6_7:                                ;   in Loop: Header=BB6_3 Depth=1
	s_or_b32 exec_lo, exec_lo, s6
	s_waitcnt lgkmcnt(0)
	s_barrier
	buffer_gl0_inv
	ds_read_b64 v[29:30], v7
	s_waitcnt lgkmcnt(0)
	v_add_f64 v[5:6], v[5:6], v[29:30]
	ds_write_b64 v7, v[5:6]
	s_waitcnt lgkmcnt(0)
	s_barrier
	buffer_gl0_inv
	s_and_saveexec_b32 s6, s1
	s_cbranch_execz .LBB6_11
; %bb.8:                                ;   in Loop: Header=BB6_3 Depth=1
	ds_read_b32 v1, v8
	ds_read_b32 v5, v11
	v_mov_b32_e32 v3, 0
	v_mov_b32_e32 v4, 0
	s_mov_b32 s26, exec_lo
	s_waitcnt lgkmcnt(0)
	v_cmpx_eq_u32_e64 v1, v5
; %bb.9:                                ;   in Loop: Header=BB6_3 Depth=1
	ds_read_b64 v[3:4], v12
; %bb.10:                               ;   in Loop: Header=BB6_3 Depth=1
	s_or_b32 exec_lo, exec_lo, s26
.LBB6_11:                               ;   in Loop: Header=BB6_3 Depth=1
	s_or_b32 exec_lo, exec_lo, s6
	s_waitcnt lgkmcnt(0)
	s_barrier
	buffer_gl0_inv
	ds_read_b64 v[5:6], v7
	s_waitcnt lgkmcnt(0)
	v_add_f64 v[29:30], v[3:4], v[5:6]
	v_mov_b32_e32 v3, 0
	v_mov_b32_e32 v5, 0
	v_mov_b32_e32 v4, 0
	v_mov_b32_e32 v6, 0
	ds_write_b64 v7, v[29:30]
	s_waitcnt lgkmcnt(0)
	s_barrier
	buffer_gl0_inv
	s_and_saveexec_b32 s6, s2
	s_cbranch_execz .LBB6_15
; %bb.12:                               ;   in Loop: Header=BB6_3 Depth=1
	ds_read_b32 v1, v8
	ds_read_b32 v29, v13
	v_mov_b32_e32 v5, 0
	v_mov_b32_e32 v6, 0
	s_mov_b32 s26, exec_lo
	s_waitcnt lgkmcnt(0)
	v_cmpx_eq_u32_e64 v1, v29
; %bb.13:                               ;   in Loop: Header=BB6_3 Depth=1
	ds_read_b64 v[5:6], v14
; %bb.14:                               ;   in Loop: Header=BB6_3 Depth=1
	s_or_b32 exec_lo, exec_lo, s26
.LBB6_15:                               ;   in Loop: Header=BB6_3 Depth=1
	s_or_b32 exec_lo, exec_lo, s6
	s_waitcnt lgkmcnt(0)
	s_barrier
	buffer_gl0_inv
	ds_read_b64 v[29:30], v7
	s_waitcnt lgkmcnt(0)
	v_add_f64 v[5:6], v[5:6], v[29:30]
	ds_write_b64 v7, v[5:6]
	s_waitcnt lgkmcnt(0)
	s_barrier
	buffer_gl0_inv
	s_and_saveexec_b32 s6, s3
	s_cbranch_execz .LBB6_19
; %bb.16:                               ;   in Loop: Header=BB6_3 Depth=1
	ds_read_b32 v1, v8
	ds_read_b32 v5, v15
	v_mov_b32_e32 v3, 0
	v_mov_b32_e32 v4, 0
	s_mov_b32 s26, exec_lo
	s_waitcnt lgkmcnt(0)
	v_cmpx_eq_u32_e64 v1, v5
; %bb.17:                               ;   in Loop: Header=BB6_3 Depth=1
	ds_read_b64 v[3:4], v16
; %bb.18:                               ;   in Loop: Header=BB6_3 Depth=1
	s_or_b32 exec_lo, exec_lo, s26
.LBB6_19:                               ;   in Loop: Header=BB6_3 Depth=1
	s_or_b32 exec_lo, exec_lo, s6
	s_waitcnt lgkmcnt(0)
	s_barrier
	buffer_gl0_inv
	ds_read_b64 v[5:6], v7
	s_waitcnt lgkmcnt(0)
	v_add_f64 v[29:30], v[3:4], v[5:6]
	v_mov_b32_e32 v3, 0
	v_mov_b32_e32 v5, 0
	v_mov_b32_e32 v4, 0
	v_mov_b32_e32 v6, 0
	ds_write_b64 v7, v[29:30]
	s_waitcnt lgkmcnt(0)
	s_barrier
	buffer_gl0_inv
	s_and_saveexec_b32 s6, s4
	s_cbranch_execz .LBB6_23
; %bb.20:                               ;   in Loop: Header=BB6_3 Depth=1
	ds_read_b32 v1, v8
	ds_read_b32 v29, v17
	v_mov_b32_e32 v5, 0
	v_mov_b32_e32 v6, 0
	s_mov_b32 s26, exec_lo
	s_waitcnt lgkmcnt(0)
	v_cmpx_eq_u32_e64 v1, v29
; %bb.21:                               ;   in Loop: Header=BB6_3 Depth=1
	ds_read_b64 v[5:6], v18
; %bb.22:                               ;   in Loop: Header=BB6_3 Depth=1
	s_or_b32 exec_lo, exec_lo, s26
.LBB6_23:                               ;   in Loop: Header=BB6_3 Depth=1
	s_or_b32 exec_lo, exec_lo, s6
	s_waitcnt lgkmcnt(0)
	s_barrier
	buffer_gl0_inv
	ds_read_b64 v[29:30], v7
	s_waitcnt lgkmcnt(0)
	v_add_f64 v[5:6], v[5:6], v[29:30]
	ds_write_b64 v7, v[5:6]
	s_waitcnt lgkmcnt(0)
	s_barrier
	buffer_gl0_inv
	s_and_saveexec_b32 s6, s5
	s_cbranch_execz .LBB6_27
; %bb.24:                               ;   in Loop: Header=BB6_3 Depth=1
	ds_read_b32 v1, v8
	ds_read_b32 v5, v19
	v_mov_b32_e32 v3, 0
	v_mov_b32_e32 v4, 0
	s_mov_b32 s26, exec_lo
	s_waitcnt lgkmcnt(0)
	v_cmpx_eq_u32_e64 v1, v5
; %bb.25:                               ;   in Loop: Header=BB6_3 Depth=1
	ds_read_b64 v[3:4], v20
; %bb.26:                               ;   in Loop: Header=BB6_3 Depth=1
	s_or_b32 exec_lo, exec_lo, s26
.LBB6_27:                               ;   in Loop: Header=BB6_3 Depth=1
	;; [unrolled: 56-line block ×4, first 2 shown]
	s_or_b32 exec_lo, exec_lo, s6
	s_waitcnt lgkmcnt(0)
	s_barrier
	buffer_gl0_inv
	ds_read_b64 v[5:6], v7
	s_waitcnt lgkmcnt(0)
	v_add_f64 v[3:4], v[3:4], v[5:6]
	ds_write_b64 v7, v[3:4]
	s_waitcnt lgkmcnt(0)
	s_barrier
	buffer_gl0_inv
	ds_read_b32 v1, v8
	v_mov_b32_e32 v3, -1
	s_and_saveexec_b32 s6, s7
; %bb.44:                               ;   in Loop: Header=BB6_3 Depth=1
	ds_read_b32 v3, v8 offset:4
; %bb.45:                               ;   in Loop: Header=BB6_3 Depth=1
	s_or_b32 exec_lo, exec_lo, s6
	s_waitcnt lgkmcnt(0)
	v_cmp_ne_u32_e32 vcc_lo, v1, v3
	v_cmp_lt_i32_e64 s6, -1, v1
	s_and_b32 s26, s6, vcc_lo
	s_and_saveexec_b32 s6, s26
	s_cbranch_execz .LBB6_2
; %bb.46:                               ;   in Loop: Header=BB6_3 Depth=1
	s_and_b32 vcc_lo, exec_lo, s22
	s_mov_b32 s26, -1
	s_cbranch_vccz .LBB6_48
; %bb.47:                               ;   in Loop: Header=BB6_3 Depth=1
	v_mad_u64_u32 v[3:4], null, s18, v1, 0
	ds_read_b64 v[29:30], v7
	s_mov_b32 s26, 0
	v_mad_u64_u32 v[4:5], null, s19, v1, v[4:5]
	v_lshlrev_b64 v[3:4], 3, v[3:4]
	v_add_co_u32 v3, vcc_lo, s23, v3
	v_add_co_ci_u32_e64 v4, null, s24, v4, vcc_lo
	global_load_dwordx2 v[5:6], v[3:4], off
	s_waitcnt vmcnt(0) lgkmcnt(0)
	v_add_f64 v[5:6], v[5:6], v[29:30]
	global_store_dwordx2 v[3:4], v[5:6], off
.LBB6_48:                               ;   in Loop: Header=BB6_3 Depth=1
	s_andn2_b32 vcc_lo, exec_lo, s26
	s_cbranch_vccnz .LBB6_2
; %bb.49:                               ;   in Loop: Header=BB6_3 Depth=1
	v_lshlrev_b64 v[3:4], 3, v[1:2]
	ds_read_b64 v[29:30], v7
	v_add_co_u32 v3, vcc_lo, s16, v3
	v_add_co_ci_u32_e64 v4, null, s17, v4, vcc_lo
	global_load_dwordx2 v[5:6], v[3:4], off
	s_waitcnt vmcnt(0) lgkmcnt(0)
	v_add_f64 v[5:6], v[5:6], v[29:30]
	global_store_dwordx2 v[3:4], v[5:6], off
	s_branch .LBB6_2
.LBB6_50:
	s_endpgm
	.section	.rodata,"a",@progbits
	.p2align	6, 0x0
	.amdhsa_kernel _ZN9rocsparseL28csrmmnn_general_block_reduceILj1024EiiddEEvT0_PKT1_PKT3_PT2_l16rocsparse_order_
		.amdhsa_group_segment_fixed_size 12288
		.amdhsa_private_segment_fixed_size 0
		.amdhsa_kernarg_size 44
		.amdhsa_user_sgpr_count 6
		.amdhsa_user_sgpr_private_segment_buffer 1
		.amdhsa_user_sgpr_dispatch_ptr 0
		.amdhsa_user_sgpr_queue_ptr 0
		.amdhsa_user_sgpr_kernarg_segment_ptr 1
		.amdhsa_user_sgpr_dispatch_id 0
		.amdhsa_user_sgpr_flat_scratch_init 0
		.amdhsa_user_sgpr_private_segment_size 0
		.amdhsa_wavefront_size32 1
		.amdhsa_uses_dynamic_stack 0
		.amdhsa_system_sgpr_private_segment_wavefront_offset 0
		.amdhsa_system_sgpr_workgroup_id_x 1
		.amdhsa_system_sgpr_workgroup_id_y 0
		.amdhsa_system_sgpr_workgroup_id_z 0
		.amdhsa_system_sgpr_workgroup_info 0
		.amdhsa_system_vgpr_workitem_id 0
		.amdhsa_next_free_vgpr 31
		.amdhsa_next_free_sgpr 28
		.amdhsa_reserve_vcc 1
		.amdhsa_reserve_flat_scratch 0
		.amdhsa_float_round_mode_32 0
		.amdhsa_float_round_mode_16_64 0
		.amdhsa_float_denorm_mode_32 3
		.amdhsa_float_denorm_mode_16_64 3
		.amdhsa_dx10_clamp 1
		.amdhsa_ieee_mode 1
		.amdhsa_fp16_overflow 0
		.amdhsa_workgroup_processor_mode 1
		.amdhsa_memory_ordered 1
		.amdhsa_forward_progress 1
		.amdhsa_shared_vgpr_count 0
		.amdhsa_exception_fp_ieee_invalid_op 0
		.amdhsa_exception_fp_denorm_src 0
		.amdhsa_exception_fp_ieee_div_zero 0
		.amdhsa_exception_fp_ieee_overflow 0
		.amdhsa_exception_fp_ieee_underflow 0
		.amdhsa_exception_fp_ieee_inexact 0
		.amdhsa_exception_int_div_zero 0
	.end_amdhsa_kernel
	.section	.text._ZN9rocsparseL28csrmmnn_general_block_reduceILj1024EiiddEEvT0_PKT1_PKT3_PT2_l16rocsparse_order_,"axG",@progbits,_ZN9rocsparseL28csrmmnn_general_block_reduceILj1024EiiddEEvT0_PKT1_PKT3_PT2_l16rocsparse_order_,comdat
.Lfunc_end6:
	.size	_ZN9rocsparseL28csrmmnn_general_block_reduceILj1024EiiddEEvT0_PKT1_PKT3_PT2_l16rocsparse_order_, .Lfunc_end6-_ZN9rocsparseL28csrmmnn_general_block_reduceILj1024EiiddEEvT0_PKT1_PKT3_PT2_l16rocsparse_order_
                                        ; -- End function
	.set _ZN9rocsparseL28csrmmnn_general_block_reduceILj1024EiiddEEvT0_PKT1_PKT3_PT2_l16rocsparse_order_.num_vgpr, 31
	.set _ZN9rocsparseL28csrmmnn_general_block_reduceILj1024EiiddEEvT0_PKT1_PKT3_PT2_l16rocsparse_order_.num_agpr, 0
	.set _ZN9rocsparseL28csrmmnn_general_block_reduceILj1024EiiddEEvT0_PKT1_PKT3_PT2_l16rocsparse_order_.numbered_sgpr, 28
	.set _ZN9rocsparseL28csrmmnn_general_block_reduceILj1024EiiddEEvT0_PKT1_PKT3_PT2_l16rocsparse_order_.num_named_barrier, 0
	.set _ZN9rocsparseL28csrmmnn_general_block_reduceILj1024EiiddEEvT0_PKT1_PKT3_PT2_l16rocsparse_order_.private_seg_size, 0
	.set _ZN9rocsparseL28csrmmnn_general_block_reduceILj1024EiiddEEvT0_PKT1_PKT3_PT2_l16rocsparse_order_.uses_vcc, 1
	.set _ZN9rocsparseL28csrmmnn_general_block_reduceILj1024EiiddEEvT0_PKT1_PKT3_PT2_l16rocsparse_order_.uses_flat_scratch, 0
	.set _ZN9rocsparseL28csrmmnn_general_block_reduceILj1024EiiddEEvT0_PKT1_PKT3_PT2_l16rocsparse_order_.has_dyn_sized_stack, 0
	.set _ZN9rocsparseL28csrmmnn_general_block_reduceILj1024EiiddEEvT0_PKT1_PKT3_PT2_l16rocsparse_order_.has_recursion, 0
	.set _ZN9rocsparseL28csrmmnn_general_block_reduceILj1024EiiddEEvT0_PKT1_PKT3_PT2_l16rocsparse_order_.has_indirect_call, 0
	.section	.AMDGPU.csdata,"",@progbits
; Kernel info:
; codeLenInByte = 2104
; TotalNumSgprs: 30
; NumVgprs: 31
; ScratchSize: 0
; MemoryBound: 0
; FloatMode: 240
; IeeeMode: 1
; LDSByteSize: 12288 bytes/workgroup (compile time only)
; SGPRBlocks: 0
; VGPRBlocks: 3
; NumSGPRsForWavesPerEU: 30
; NumVGPRsForWavesPerEU: 31
; Occupancy: 16
; WaveLimiterHint : 0
; COMPUTE_PGM_RSRC2:SCRATCH_EN: 0
; COMPUTE_PGM_RSRC2:USER_SGPR: 6
; COMPUTE_PGM_RSRC2:TRAP_HANDLER: 0
; COMPUTE_PGM_RSRC2:TGID_X_EN: 1
; COMPUTE_PGM_RSRC2:TGID_Y_EN: 0
; COMPUTE_PGM_RSRC2:TGID_Z_EN: 0
; COMPUTE_PGM_RSRC2:TIDIG_COMP_CNT: 0
	.section	.text._ZN9rocsparseL28csrmmnn_general_block_reduceILj1024EliddEEvT0_PKT1_PKT3_PT2_l16rocsparse_order_,"axG",@progbits,_ZN9rocsparseL28csrmmnn_general_block_reduceILj1024EliddEEvT0_PKT1_PKT3_PT2_l16rocsparse_order_,comdat
	.globl	_ZN9rocsparseL28csrmmnn_general_block_reduceILj1024EliddEEvT0_PKT1_PKT3_PT2_l16rocsparse_order_ ; -- Begin function _ZN9rocsparseL28csrmmnn_general_block_reduceILj1024EliddEEvT0_PKT1_PKT3_PT2_l16rocsparse_order_
	.p2align	8
	.type	_ZN9rocsparseL28csrmmnn_general_block_reduceILj1024EliddEEvT0_PKT1_PKT3_PT2_l16rocsparse_order_,@function
_ZN9rocsparseL28csrmmnn_general_block_reduceILj1024EliddEEvT0_PKT1_PKT3_PT2_l16rocsparse_order_: ; @_ZN9rocsparseL28csrmmnn_general_block_reduceILj1024EliddEEvT0_PKT1_PKT3_PT2_l16rocsparse_order_
; %bb.0:
	s_load_dwordx2 s[20:21], s[4:5], 0x0
	v_mov_b32_e32 v2, -1
	v_mov_b32_e32 v1, 0
	v_lshlrev_b32_e32 v10, 3, v0
	s_mov_b32 s7, 0
	s_mov_b32 s0, exec_lo
	v_mov_b32_e32 v3, v2
	v_mov_b32_e32 v4, v1
	;; [unrolled: 1-line block ×3, first 2 shown]
	ds_write2st64_b64 v10, v[2:3], v[4:5] offset1:16
	s_waitcnt lgkmcnt(0)
	s_barrier
	buffer_gl0_inv
	v_cmpx_gt_i64_e64 s[20:21], v[0:1]
	s_cbranch_execz .LBB7_50
; %bb.1:
	s_clause 0x1
	s_load_dwordx8 s[12:19], s[4:5], 0x8
	s_load_dword s24, s[4:5], 0x28
	s_lshl_b64 s[8:9], s[6:7], 3
	v_lshlrev_b32_e32 v2, 3, v0
	v_lshlrev_b32_e32 v4, 2, v0
	v_or_b32_e32 v11, 0x2000, v10
	v_cmp_ne_u32_e64 s0, 0, v0
	v_add_nc_u32_e32 v12, -8, v10
	v_cmp_lt_u32_e64 s1, 1, v0
	v_add_nc_u32_e32 v13, -16, v10
	v_cmp_lt_u32_e64 s2, 3, v0
	v_subrev_nc_u32_e32 v14, 32, v10
	v_cmp_lt_u32_e64 s3, 7, v0
	v_subrev_nc_u32_e32 v15, 64, v10
	v_cmp_lt_u32_e64 s4, 15, v0
	v_add_nc_u32_e32 v16, 0xffffff80, v10
	v_cmp_lt_u32_e64 s5, 31, v0
	v_add_nc_u32_e32 v17, -8, v11
	v_add_nc_u32_e32 v18, -16, v11
	v_subrev_nc_u32_e32 v19, 32, v11
	s_waitcnt lgkmcnt(0)
	s_add_u32 s22, s16, s8
	s_addc_u32 s23, s17, s9
	s_cmp_lg_u32 s24, 1
	s_mul_i32 s25, s19, s6
	s_mul_hi_u32 s26, s18, s6
	s_cselect_b32 s24, -1, 0
	s_add_i32 s27, s26, s25
	s_mul_i32 s26, s18, s6
	s_mul_i32 s25, s21, s6
	s_lshl_b64 s[26:27], s[26:27], 3
	v_add_co_u32 v4, s12, s12, v4
	s_add_u32 s16, s16, s26
	s_mul_hi_u32 s26, s20, s6
	s_addc_u32 s17, s17, s27
	s_add_i32 s27, s26, s25
	s_mul_i32 s26, s20, s6
	v_subrev_nc_u32_e32 v20, 64, v11
	s_lshl_b64 s[26:27], s[26:27], 3
	v_add_nc_u32_e32 v21, 0xffffff80, v11
	s_add_u32 s14, s14, s26
	s_addc_u32 s15, s15, s27
	v_add_co_u32 v2, s14, s14, v2
	v_add_nc_u32_e32 v22, 0xffffff00, v10
	v_add_nc_u32_e32 v23, 0xffffff00, v11
	v_cmp_lt_u32_e64 s8, 63, v0
	v_add_nc_u32_e32 v24, 0xfffffe00, v10
	v_add_nc_u32_e32 v25, 0xfffffe00, v11
	v_cmp_lt_u32_e64 s9, 0x7f, v0
	;; [unrolled: 3-line block ×4, first 2 shown]
	v_add_nc_u32_e32 v30, 0xfffff000, v10
	v_add_nc_u32_e32 v31, 0xfffff000, v11
	v_cmp_ne_u32_e64 s6, 0x3ff, v0
	v_add_co_ci_u32_e64 v3, null, s15, 0, s14
	v_add_co_ci_u32_e64 v5, null, s13, 0, s12
	s_branch .LBB7_3
.LBB7_2:                                ;   in Loop: Header=BB7_3 Depth=1
	s_or_b32 exec_lo, exec_lo, s12
	v_add_co_u32 v0, vcc_lo, 0x400, v0
	v_add_co_ci_u32_e64 v1, null, 0, v1, vcc_lo
	v_add_co_u32 v2, vcc_lo, 0x2000, v2
	v_add_co_ci_u32_e64 v3, null, 0, v3, vcc_lo
	v_cmp_le_i64_e32 vcc_lo, s[20:21], v[0:1]
	v_add_co_u32 v4, s12, 0x1000, v4
	v_add_co_ci_u32_e64 v5, null, 0, v5, s12
	s_waitcnt_vscnt null, 0x0
	s_or_b32 s7, vcc_lo, s7
	s_barrier
	buffer_gl0_inv
	s_andn2_b32 exec_lo, exec_lo, s7
	s_cbranch_execz .LBB7_50
.LBB7_3:                                ; =>This Inner Loop Header: Depth=1
	global_load_dword v32, v[4:5], off
	global_load_dwordx2 v[34:35], v[2:3], off
	v_mov_b32_e32 v6, 0
	v_mov_b32_e32 v8, 0
	;; [unrolled: 1-line block ×4, first 2 shown]
	s_waitcnt vmcnt(1)
	v_ashrrev_i32_e32 v33, 31, v32
	s_waitcnt vmcnt(0)
	ds_write_b64 v11, v[34:35]
	ds_write_b64 v10, v[32:33]
	s_waitcnt lgkmcnt(0)
	s_barrier
	buffer_gl0_inv
	s_and_saveexec_b32 s12, s0
	s_cbranch_execz .LBB7_7
; %bb.4:                                ;   in Loop: Header=BB7_3 Depth=1
	ds_read2_b64 v[32:35], v12 offset1:1
	v_mov_b32_e32 v8, 0
	v_mov_b32_e32 v9, 0
	s_mov_b32 s13, exec_lo
	s_waitcnt lgkmcnt(0)
	v_cmpx_eq_u64_e64 v[34:35], v[32:33]
; %bb.5:                                ;   in Loop: Header=BB7_3 Depth=1
	ds_read_b64 v[8:9], v17
; %bb.6:                                ;   in Loop: Header=BB7_3 Depth=1
	s_or_b32 exec_lo, exec_lo, s13
.LBB7_7:                                ;   in Loop: Header=BB7_3 Depth=1
	s_or_b32 exec_lo, exec_lo, s12
	s_waitcnt lgkmcnt(0)
	s_barrier
	buffer_gl0_inv
	ds_read_b64 v[32:33], v11
	s_waitcnt lgkmcnt(0)
	v_add_f64 v[8:9], v[8:9], v[32:33]
	ds_write_b64 v11, v[8:9]
	s_waitcnt lgkmcnt(0)
	s_barrier
	buffer_gl0_inv
	s_and_saveexec_b32 s12, s1
	s_cbranch_execz .LBB7_11
; %bb.8:                                ;   in Loop: Header=BB7_3 Depth=1
	ds_read_b64 v[6:7], v10
	ds_read_b64 v[8:9], v13
	s_waitcnt lgkmcnt(0)
	v_cmp_eq_u64_e32 vcc_lo, v[6:7], v[8:9]
	v_mov_b32_e32 v6, 0
	v_mov_b32_e32 v7, 0
	s_and_saveexec_b32 s13, vcc_lo
; %bb.9:                                ;   in Loop: Header=BB7_3 Depth=1
	ds_read_b64 v[6:7], v18
; %bb.10:                               ;   in Loop: Header=BB7_3 Depth=1
	s_or_b32 exec_lo, exec_lo, s13
.LBB7_11:                               ;   in Loop: Header=BB7_3 Depth=1
	s_or_b32 exec_lo, exec_lo, s12
	s_waitcnt lgkmcnt(0)
	s_barrier
	buffer_gl0_inv
	ds_read_b64 v[8:9], v11
	s_waitcnt lgkmcnt(0)
	v_add_f64 v[32:33], v[6:7], v[8:9]
	v_mov_b32_e32 v6, 0
	v_mov_b32_e32 v8, 0
	v_mov_b32_e32 v7, 0
	v_mov_b32_e32 v9, 0
	ds_write_b64 v11, v[32:33]
	s_waitcnt lgkmcnt(0)
	s_barrier
	buffer_gl0_inv
	s_and_saveexec_b32 s12, s2
	s_cbranch_execz .LBB7_15
; %bb.12:                               ;   in Loop: Header=BB7_3 Depth=1
	ds_read_b64 v[8:9], v10
	ds_read_b64 v[32:33], v14
	s_waitcnt lgkmcnt(0)
	v_cmp_eq_u64_e32 vcc_lo, v[8:9], v[32:33]
	v_mov_b32_e32 v8, 0
	v_mov_b32_e32 v9, 0
	s_and_saveexec_b32 s13, vcc_lo
; %bb.13:                               ;   in Loop: Header=BB7_3 Depth=1
	ds_read_b64 v[8:9], v19
; %bb.14:                               ;   in Loop: Header=BB7_3 Depth=1
	s_or_b32 exec_lo, exec_lo, s13
.LBB7_15:                               ;   in Loop: Header=BB7_3 Depth=1
	s_or_b32 exec_lo, exec_lo, s12
	s_waitcnt lgkmcnt(0)
	s_barrier
	buffer_gl0_inv
	ds_read_b64 v[32:33], v11
	s_waitcnt lgkmcnt(0)
	v_add_f64 v[8:9], v[8:9], v[32:33]
	ds_write_b64 v11, v[8:9]
	s_waitcnt lgkmcnt(0)
	s_barrier
	buffer_gl0_inv
	s_and_saveexec_b32 s12, s3
	s_cbranch_execz .LBB7_19
; %bb.16:                               ;   in Loop: Header=BB7_3 Depth=1
	ds_read_b64 v[6:7], v10
	ds_read_b64 v[8:9], v15
	s_waitcnt lgkmcnt(0)
	v_cmp_eq_u64_e32 vcc_lo, v[6:7], v[8:9]
	v_mov_b32_e32 v6, 0
	v_mov_b32_e32 v7, 0
	s_and_saveexec_b32 s13, vcc_lo
; %bb.17:                               ;   in Loop: Header=BB7_3 Depth=1
	ds_read_b64 v[6:7], v20
; %bb.18:                               ;   in Loop: Header=BB7_3 Depth=1
	s_or_b32 exec_lo, exec_lo, s13
.LBB7_19:                               ;   in Loop: Header=BB7_3 Depth=1
	s_or_b32 exec_lo, exec_lo, s12
	s_waitcnt lgkmcnt(0)
	s_barrier
	buffer_gl0_inv
	ds_read_b64 v[8:9], v11
	s_waitcnt lgkmcnt(0)
	v_add_f64 v[32:33], v[6:7], v[8:9]
	v_mov_b32_e32 v6, 0
	v_mov_b32_e32 v8, 0
	v_mov_b32_e32 v7, 0
	v_mov_b32_e32 v9, 0
	ds_write_b64 v11, v[32:33]
	s_waitcnt lgkmcnt(0)
	s_barrier
	buffer_gl0_inv
	s_and_saveexec_b32 s12, s4
	s_cbranch_execz .LBB7_23
; %bb.20:                               ;   in Loop: Header=BB7_3 Depth=1
	ds_read_b64 v[8:9], v10
	ds_read_b64 v[32:33], v16
	s_waitcnt lgkmcnt(0)
	v_cmp_eq_u64_e32 vcc_lo, v[8:9], v[32:33]
	v_mov_b32_e32 v8, 0
	v_mov_b32_e32 v9, 0
	s_and_saveexec_b32 s13, vcc_lo
; %bb.21:                               ;   in Loop: Header=BB7_3 Depth=1
	ds_read_b64 v[8:9], v21
; %bb.22:                               ;   in Loop: Header=BB7_3 Depth=1
	s_or_b32 exec_lo, exec_lo, s13
.LBB7_23:                               ;   in Loop: Header=BB7_3 Depth=1
	s_or_b32 exec_lo, exec_lo, s12
	s_waitcnt lgkmcnt(0)
	s_barrier
	buffer_gl0_inv
	ds_read_b64 v[32:33], v11
	s_waitcnt lgkmcnt(0)
	v_add_f64 v[8:9], v[8:9], v[32:33]
	ds_write_b64 v11, v[8:9]
	s_waitcnt lgkmcnt(0)
	s_barrier
	buffer_gl0_inv
	s_and_saveexec_b32 s12, s5
	s_cbranch_execz .LBB7_27
; %bb.24:                               ;   in Loop: Header=BB7_3 Depth=1
	ds_read_b64 v[6:7], v10
	ds_read_b64 v[8:9], v22
	s_waitcnt lgkmcnt(0)
	v_cmp_eq_u64_e32 vcc_lo, v[6:7], v[8:9]
	v_mov_b32_e32 v6, 0
	v_mov_b32_e32 v7, 0
	s_and_saveexec_b32 s13, vcc_lo
; %bb.25:                               ;   in Loop: Header=BB7_3 Depth=1
	ds_read_b64 v[6:7], v23
; %bb.26:                               ;   in Loop: Header=BB7_3 Depth=1
	s_or_b32 exec_lo, exec_lo, s13
.LBB7_27:                               ;   in Loop: Header=BB7_3 Depth=1
	;; [unrolled: 56-line block ×4, first 2 shown]
	s_or_b32 exec_lo, exec_lo, s12
	s_waitcnt lgkmcnt(0)
	s_barrier
	buffer_gl0_inv
	ds_read_b64 v[8:9], v11
	s_waitcnt lgkmcnt(0)
	v_add_f64 v[6:7], v[6:7], v[8:9]
	v_mov_b32_e32 v8, -1
	v_mov_b32_e32 v9, -1
	ds_write_b64 v11, v[6:7]
	s_waitcnt lgkmcnt(0)
	s_barrier
	buffer_gl0_inv
	ds_read_b64 v[6:7], v10
	s_and_saveexec_b32 s12, s6
; %bb.44:                               ;   in Loop: Header=BB7_3 Depth=1
	ds_read_b64 v[8:9], v10 offset:8
; %bb.45:                               ;   in Loop: Header=BB7_3 Depth=1
	s_or_b32 exec_lo, exec_lo, s12
	s_waitcnt lgkmcnt(0)
	v_cmp_ne_u64_e32 vcc_lo, v[6:7], v[8:9]
	v_cmp_lt_i64_e64 s12, -1, v[6:7]
	s_and_b32 s13, s12, vcc_lo
	s_and_saveexec_b32 s12, s13
	s_cbranch_execz .LBB7_2
; %bb.46:                               ;   in Loop: Header=BB7_3 Depth=1
	s_and_b32 vcc_lo, exec_lo, s24
	s_mov_b32 s13, -1
	s_cbranch_vccz .LBB7_48
; %bb.47:                               ;   in Loop: Header=BB7_3 Depth=1
	v_mul_lo_u32 v32, v7, s18
	v_mul_lo_u32 v33, v6, s19
	v_mad_u64_u32 v[8:9], null, v6, s18, 0
	ds_read_b64 v[34:35], v11
	s_mov_b32 s13, 0
	v_add3_u32 v9, v9, v33, v32
	v_lshlrev_b64 v[8:9], 3, v[8:9]
	v_add_co_u32 v8, vcc_lo, s22, v8
	v_add_co_ci_u32_e64 v9, null, s23, v9, vcc_lo
	global_load_dwordx2 v[32:33], v[8:9], off
	s_waitcnt vmcnt(0) lgkmcnt(0)
	v_add_f64 v[32:33], v[32:33], v[34:35]
	global_store_dwordx2 v[8:9], v[32:33], off
.LBB7_48:                               ;   in Loop: Header=BB7_3 Depth=1
	s_andn2_b32 vcc_lo, exec_lo, s13
	s_cbranch_vccnz .LBB7_2
; %bb.49:                               ;   in Loop: Header=BB7_3 Depth=1
	v_lshlrev_b64 v[6:7], 3, v[6:7]
	ds_read_b64 v[32:33], v11
	v_add_co_u32 v6, vcc_lo, s16, v6
	v_add_co_ci_u32_e64 v7, null, s17, v7, vcc_lo
	global_load_dwordx2 v[8:9], v[6:7], off
	s_waitcnt vmcnt(0) lgkmcnt(0)
	v_add_f64 v[8:9], v[8:9], v[32:33]
	global_store_dwordx2 v[6:7], v[8:9], off
	s_branch .LBB7_2
.LBB7_50:
	s_endpgm
	.section	.rodata,"a",@progbits
	.p2align	6, 0x0
	.amdhsa_kernel _ZN9rocsparseL28csrmmnn_general_block_reduceILj1024EliddEEvT0_PKT1_PKT3_PT2_l16rocsparse_order_
		.amdhsa_group_segment_fixed_size 16384
		.amdhsa_private_segment_fixed_size 0
		.amdhsa_kernarg_size 44
		.amdhsa_user_sgpr_count 6
		.amdhsa_user_sgpr_private_segment_buffer 1
		.amdhsa_user_sgpr_dispatch_ptr 0
		.amdhsa_user_sgpr_queue_ptr 0
		.amdhsa_user_sgpr_kernarg_segment_ptr 1
		.amdhsa_user_sgpr_dispatch_id 0
		.amdhsa_user_sgpr_flat_scratch_init 0
		.amdhsa_user_sgpr_private_segment_size 0
		.amdhsa_wavefront_size32 1
		.amdhsa_uses_dynamic_stack 0
		.amdhsa_system_sgpr_private_segment_wavefront_offset 0
		.amdhsa_system_sgpr_workgroup_id_x 1
		.amdhsa_system_sgpr_workgroup_id_y 0
		.amdhsa_system_sgpr_workgroup_id_z 0
		.amdhsa_system_sgpr_workgroup_info 0
		.amdhsa_system_vgpr_workitem_id 0
		.amdhsa_next_free_vgpr 36
		.amdhsa_next_free_sgpr 28
		.amdhsa_reserve_vcc 1
		.amdhsa_reserve_flat_scratch 0
		.amdhsa_float_round_mode_32 0
		.amdhsa_float_round_mode_16_64 0
		.amdhsa_float_denorm_mode_32 3
		.amdhsa_float_denorm_mode_16_64 3
		.amdhsa_dx10_clamp 1
		.amdhsa_ieee_mode 1
		.amdhsa_fp16_overflow 0
		.amdhsa_workgroup_processor_mode 1
		.amdhsa_memory_ordered 1
		.amdhsa_forward_progress 1
		.amdhsa_shared_vgpr_count 0
		.amdhsa_exception_fp_ieee_invalid_op 0
		.amdhsa_exception_fp_denorm_src 0
		.amdhsa_exception_fp_ieee_div_zero 0
		.amdhsa_exception_fp_ieee_overflow 0
		.amdhsa_exception_fp_ieee_underflow 0
		.amdhsa_exception_fp_ieee_inexact 0
		.amdhsa_exception_int_div_zero 0
	.end_amdhsa_kernel
	.section	.text._ZN9rocsparseL28csrmmnn_general_block_reduceILj1024EliddEEvT0_PKT1_PKT3_PT2_l16rocsparse_order_,"axG",@progbits,_ZN9rocsparseL28csrmmnn_general_block_reduceILj1024EliddEEvT0_PKT1_PKT3_PT2_l16rocsparse_order_,comdat
.Lfunc_end7:
	.size	_ZN9rocsparseL28csrmmnn_general_block_reduceILj1024EliddEEvT0_PKT1_PKT3_PT2_l16rocsparse_order_, .Lfunc_end7-_ZN9rocsparseL28csrmmnn_general_block_reduceILj1024EliddEEvT0_PKT1_PKT3_PT2_l16rocsparse_order_
                                        ; -- End function
	.set _ZN9rocsparseL28csrmmnn_general_block_reduceILj1024EliddEEvT0_PKT1_PKT3_PT2_l16rocsparse_order_.num_vgpr, 36
	.set _ZN9rocsparseL28csrmmnn_general_block_reduceILj1024EliddEEvT0_PKT1_PKT3_PT2_l16rocsparse_order_.num_agpr, 0
	.set _ZN9rocsparseL28csrmmnn_general_block_reduceILj1024EliddEEvT0_PKT1_PKT3_PT2_l16rocsparse_order_.numbered_sgpr, 28
	.set _ZN9rocsparseL28csrmmnn_general_block_reduceILj1024EliddEEvT0_PKT1_PKT3_PT2_l16rocsparse_order_.num_named_barrier, 0
	.set _ZN9rocsparseL28csrmmnn_general_block_reduceILj1024EliddEEvT0_PKT1_PKT3_PT2_l16rocsparse_order_.private_seg_size, 0
	.set _ZN9rocsparseL28csrmmnn_general_block_reduceILj1024EliddEEvT0_PKT1_PKT3_PT2_l16rocsparse_order_.uses_vcc, 1
	.set _ZN9rocsparseL28csrmmnn_general_block_reduceILj1024EliddEEvT0_PKT1_PKT3_PT2_l16rocsparse_order_.uses_flat_scratch, 0
	.set _ZN9rocsparseL28csrmmnn_general_block_reduceILj1024EliddEEvT0_PKT1_PKT3_PT2_l16rocsparse_order_.has_dyn_sized_stack, 0
	.set _ZN9rocsparseL28csrmmnn_general_block_reduceILj1024EliddEEvT0_PKT1_PKT3_PT2_l16rocsparse_order_.has_recursion, 0
	.set _ZN9rocsparseL28csrmmnn_general_block_reduceILj1024EliddEEvT0_PKT1_PKT3_PT2_l16rocsparse_order_.has_indirect_call, 0
	.section	.AMDGPU.csdata,"",@progbits
; Kernel info:
; codeLenInByte = 2136
; TotalNumSgprs: 30
; NumVgprs: 36
; ScratchSize: 0
; MemoryBound: 0
; FloatMode: 240
; IeeeMode: 1
; LDSByteSize: 16384 bytes/workgroup (compile time only)
; SGPRBlocks: 0
; VGPRBlocks: 4
; NumSGPRsForWavesPerEU: 30
; NumVGPRsForWavesPerEU: 36
; Occupancy: 16
; WaveLimiterHint : 0
; COMPUTE_PGM_RSRC2:SCRATCH_EN: 0
; COMPUTE_PGM_RSRC2:USER_SGPR: 6
; COMPUTE_PGM_RSRC2:TRAP_HANDLER: 0
; COMPUTE_PGM_RSRC2:TGID_X_EN: 1
; COMPUTE_PGM_RSRC2:TGID_Y_EN: 0
; COMPUTE_PGM_RSRC2:TGID_Z_EN: 0
; COMPUTE_PGM_RSRC2:TIDIG_COMP_CNT: 0
	.section	.text._ZN9rocsparseL28csrmmnn_general_block_reduceILj1024EllddEEvT0_PKT1_PKT3_PT2_l16rocsparse_order_,"axG",@progbits,_ZN9rocsparseL28csrmmnn_general_block_reduceILj1024EllddEEvT0_PKT1_PKT3_PT2_l16rocsparse_order_,comdat
	.globl	_ZN9rocsparseL28csrmmnn_general_block_reduceILj1024EllddEEvT0_PKT1_PKT3_PT2_l16rocsparse_order_ ; -- Begin function _ZN9rocsparseL28csrmmnn_general_block_reduceILj1024EllddEEvT0_PKT1_PKT3_PT2_l16rocsparse_order_
	.p2align	8
	.type	_ZN9rocsparseL28csrmmnn_general_block_reduceILj1024EllddEEvT0_PKT1_PKT3_PT2_l16rocsparse_order_,@function
_ZN9rocsparseL28csrmmnn_general_block_reduceILj1024EllddEEvT0_PKT1_PKT3_PT2_l16rocsparse_order_: ; @_ZN9rocsparseL28csrmmnn_general_block_reduceILj1024EllddEEvT0_PKT1_PKT3_PT2_l16rocsparse_order_
; %bb.0:
	s_load_dwordx2 s[20:21], s[4:5], 0x0
	v_mov_b32_e32 v2, -1
	v_mov_b32_e32 v1, 0
	v_lshlrev_b32_e32 v10, 3, v0
	s_mov_b32 s7, 0
	s_mov_b32 s0, exec_lo
	v_mov_b32_e32 v3, v2
	v_mov_b32_e32 v4, v1
	;; [unrolled: 1-line block ×3, first 2 shown]
	ds_write2st64_b64 v10, v[2:3], v[4:5] offset1:16
	s_waitcnt lgkmcnt(0)
	s_barrier
	buffer_gl0_inv
	v_cmpx_gt_i64_e64 s[20:21], v[0:1]
	s_cbranch_execz .LBB8_50
; %bb.1:
	s_clause 0x1
	s_load_dwordx8 s[12:19], s[4:5], 0x8
	s_load_dword s11, s[4:5], 0x28
	s_lshl_b64 s[8:9], s[6:7], 3
	v_lshlrev_b32_e32 v4, 3, v0
	v_or_b32_e32 v11, 0x2000, v10
	v_cmp_ne_u32_e64 s0, 0, v0
	v_add_nc_u32_e32 v12, -8, v10
	v_cmp_lt_u32_e64 s1, 1, v0
	v_add_nc_u32_e32 v13, -16, v10
	v_cmp_lt_u32_e64 s2, 3, v0
	v_subrev_nc_u32_e32 v14, 32, v10
	v_cmp_lt_u32_e64 s3, 7, v0
	v_subrev_nc_u32_e32 v15, 64, v10
	v_cmp_lt_u32_e64 s4, 15, v0
	v_add_nc_u32_e32 v16, 0xffffff80, v10
	v_cmp_lt_u32_e64 s5, 31, v0
	v_add_nc_u32_e32 v17, -8, v11
	v_add_nc_u32_e32 v18, -16, v11
	v_subrev_nc_u32_e32 v19, 32, v11
	v_subrev_nc_u32_e32 v20, 64, v11
	s_waitcnt lgkmcnt(0)
	s_add_u32 s22, s16, s8
	s_addc_u32 s23, s17, s9
	s_cmp_lg_u32 s11, 1
	s_mul_i32 s11, s19, s6
	s_mul_hi_u32 s25, s18, s6
	s_cselect_b32 s24, -1, 0
	s_add_i32 s27, s25, s11
	s_mul_i32 s26, s18, s6
	s_mul_i32 s25, s21, s6
	s_lshl_b64 s[26:27], s[26:27], 3
	v_add_nc_u32_e32 v21, 0xffffff80, v11
	s_add_u32 s16, s16, s26
	s_mul_hi_u32 s26, s20, s6
	s_addc_u32 s17, s17, s27
	s_add_i32 s27, s26, s25
	s_mul_i32 s26, s20, s6
	v_add_nc_u32_e32 v22, 0xffffff00, v10
	s_lshl_b64 s[26:27], s[26:27], 3
	v_add_nc_u32_e32 v23, 0xffffff00, v11
	s_add_u32 s14, s14, s26
	s_addc_u32 s15, s15, s27
	v_add_co_u32 v2, s14, s14, v4
	v_add_co_u32 v4, s12, s12, v4
	v_cmp_lt_u32_e64 s8, 63, v0
	v_add_nc_u32_e32 v24, 0xfffffe00, v10
	v_add_nc_u32_e32 v25, 0xfffffe00, v11
	v_cmp_lt_u32_e64 s9, 0x7f, v0
	v_add_nc_u32_e32 v26, 0xfffffc00, v10
	v_add_nc_u32_e32 v27, 0xfffffc00, v11
	;; [unrolled: 3-line block ×4, first 2 shown]
	v_cmp_ne_u32_e64 s6, 0x3ff, v0
	v_add_co_ci_u32_e64 v3, null, s15, 0, s14
	v_add_co_ci_u32_e64 v5, null, s13, 0, s12
	s_branch .LBB8_3
.LBB8_2:                                ;   in Loop: Header=BB8_3 Depth=1
	s_or_b32 exec_lo, exec_lo, s12
	v_add_co_u32 v0, vcc_lo, 0x400, v0
	v_add_co_ci_u32_e64 v1, null, 0, v1, vcc_lo
	v_add_co_u32 v2, vcc_lo, 0x2000, v2
	v_add_co_ci_u32_e64 v3, null, 0, v3, vcc_lo
	v_cmp_le_i64_e32 vcc_lo, s[20:21], v[0:1]
	v_add_co_u32 v4, s12, 0x2000, v4
	v_add_co_ci_u32_e64 v5, null, 0, v5, s12
	s_waitcnt_vscnt null, 0x0
	s_or_b32 s7, vcc_lo, s7
	s_barrier
	buffer_gl0_inv
	s_andn2_b32 exec_lo, exec_lo, s7
	s_cbranch_execz .LBB8_50
.LBB8_3:                                ; =>This Inner Loop Header: Depth=1
	global_load_dwordx2 v[32:33], v[4:5], off
	global_load_dwordx2 v[34:35], v[2:3], off
	v_mov_b32_e32 v6, 0
	v_mov_b32_e32 v8, 0
	;; [unrolled: 1-line block ×4, first 2 shown]
	s_waitcnt vmcnt(1)
	ds_write_b64 v10, v[32:33]
	s_waitcnt vmcnt(0)
	ds_write_b64 v11, v[34:35]
	s_waitcnt lgkmcnt(0)
	s_barrier
	buffer_gl0_inv
	s_and_saveexec_b32 s12, s0
	s_cbranch_execz .LBB8_7
; %bb.4:                                ;   in Loop: Header=BB8_3 Depth=1
	ds_read2_b64 v[32:35], v12 offset1:1
	v_mov_b32_e32 v8, 0
	v_mov_b32_e32 v9, 0
	s_mov_b32 s13, exec_lo
	s_waitcnt lgkmcnt(0)
	v_cmpx_eq_u64_e64 v[34:35], v[32:33]
; %bb.5:                                ;   in Loop: Header=BB8_3 Depth=1
	ds_read_b64 v[8:9], v17
; %bb.6:                                ;   in Loop: Header=BB8_3 Depth=1
	s_or_b32 exec_lo, exec_lo, s13
.LBB8_7:                                ;   in Loop: Header=BB8_3 Depth=1
	s_or_b32 exec_lo, exec_lo, s12
	s_waitcnt lgkmcnt(0)
	s_barrier
	buffer_gl0_inv
	ds_read_b64 v[32:33], v11
	s_waitcnt lgkmcnt(0)
	v_add_f64 v[8:9], v[8:9], v[32:33]
	ds_write_b64 v11, v[8:9]
	s_waitcnt lgkmcnt(0)
	s_barrier
	buffer_gl0_inv
	s_and_saveexec_b32 s12, s1
	s_cbranch_execz .LBB8_11
; %bb.8:                                ;   in Loop: Header=BB8_3 Depth=1
	ds_read_b64 v[6:7], v10
	ds_read_b64 v[8:9], v13
	s_waitcnt lgkmcnt(0)
	v_cmp_eq_u64_e32 vcc_lo, v[6:7], v[8:9]
	v_mov_b32_e32 v6, 0
	v_mov_b32_e32 v7, 0
	s_and_saveexec_b32 s13, vcc_lo
; %bb.9:                                ;   in Loop: Header=BB8_3 Depth=1
	ds_read_b64 v[6:7], v18
; %bb.10:                               ;   in Loop: Header=BB8_3 Depth=1
	s_or_b32 exec_lo, exec_lo, s13
.LBB8_11:                               ;   in Loop: Header=BB8_3 Depth=1
	s_or_b32 exec_lo, exec_lo, s12
	s_waitcnt lgkmcnt(0)
	s_barrier
	buffer_gl0_inv
	ds_read_b64 v[8:9], v11
	s_waitcnt lgkmcnt(0)
	v_add_f64 v[32:33], v[6:7], v[8:9]
	v_mov_b32_e32 v6, 0
	v_mov_b32_e32 v8, 0
	v_mov_b32_e32 v7, 0
	v_mov_b32_e32 v9, 0
	ds_write_b64 v11, v[32:33]
	s_waitcnt lgkmcnt(0)
	s_barrier
	buffer_gl0_inv
	s_and_saveexec_b32 s12, s2
	s_cbranch_execz .LBB8_15
; %bb.12:                               ;   in Loop: Header=BB8_3 Depth=1
	ds_read_b64 v[8:9], v10
	ds_read_b64 v[32:33], v14
	s_waitcnt lgkmcnt(0)
	v_cmp_eq_u64_e32 vcc_lo, v[8:9], v[32:33]
	v_mov_b32_e32 v8, 0
	v_mov_b32_e32 v9, 0
	s_and_saveexec_b32 s13, vcc_lo
; %bb.13:                               ;   in Loop: Header=BB8_3 Depth=1
	ds_read_b64 v[8:9], v19
; %bb.14:                               ;   in Loop: Header=BB8_3 Depth=1
	s_or_b32 exec_lo, exec_lo, s13
.LBB8_15:                               ;   in Loop: Header=BB8_3 Depth=1
	s_or_b32 exec_lo, exec_lo, s12
	s_waitcnt lgkmcnt(0)
	s_barrier
	buffer_gl0_inv
	ds_read_b64 v[32:33], v11
	s_waitcnt lgkmcnt(0)
	v_add_f64 v[8:9], v[8:9], v[32:33]
	ds_write_b64 v11, v[8:9]
	s_waitcnt lgkmcnt(0)
	s_barrier
	buffer_gl0_inv
	s_and_saveexec_b32 s12, s3
	s_cbranch_execz .LBB8_19
; %bb.16:                               ;   in Loop: Header=BB8_3 Depth=1
	ds_read_b64 v[6:7], v10
	ds_read_b64 v[8:9], v15
	s_waitcnt lgkmcnt(0)
	v_cmp_eq_u64_e32 vcc_lo, v[6:7], v[8:9]
	v_mov_b32_e32 v6, 0
	v_mov_b32_e32 v7, 0
	s_and_saveexec_b32 s13, vcc_lo
; %bb.17:                               ;   in Loop: Header=BB8_3 Depth=1
	ds_read_b64 v[6:7], v20
; %bb.18:                               ;   in Loop: Header=BB8_3 Depth=1
	s_or_b32 exec_lo, exec_lo, s13
.LBB8_19:                               ;   in Loop: Header=BB8_3 Depth=1
	s_or_b32 exec_lo, exec_lo, s12
	s_waitcnt lgkmcnt(0)
	s_barrier
	buffer_gl0_inv
	ds_read_b64 v[8:9], v11
	s_waitcnt lgkmcnt(0)
	v_add_f64 v[32:33], v[6:7], v[8:9]
	v_mov_b32_e32 v6, 0
	v_mov_b32_e32 v8, 0
	v_mov_b32_e32 v7, 0
	v_mov_b32_e32 v9, 0
	ds_write_b64 v11, v[32:33]
	s_waitcnt lgkmcnt(0)
	s_barrier
	buffer_gl0_inv
	s_and_saveexec_b32 s12, s4
	s_cbranch_execz .LBB8_23
; %bb.20:                               ;   in Loop: Header=BB8_3 Depth=1
	ds_read_b64 v[8:9], v10
	ds_read_b64 v[32:33], v16
	s_waitcnt lgkmcnt(0)
	v_cmp_eq_u64_e32 vcc_lo, v[8:9], v[32:33]
	v_mov_b32_e32 v8, 0
	v_mov_b32_e32 v9, 0
	s_and_saveexec_b32 s13, vcc_lo
; %bb.21:                               ;   in Loop: Header=BB8_3 Depth=1
	ds_read_b64 v[8:9], v21
; %bb.22:                               ;   in Loop: Header=BB8_3 Depth=1
	s_or_b32 exec_lo, exec_lo, s13
.LBB8_23:                               ;   in Loop: Header=BB8_3 Depth=1
	s_or_b32 exec_lo, exec_lo, s12
	s_waitcnt lgkmcnt(0)
	s_barrier
	buffer_gl0_inv
	ds_read_b64 v[32:33], v11
	s_waitcnt lgkmcnt(0)
	v_add_f64 v[8:9], v[8:9], v[32:33]
	ds_write_b64 v11, v[8:9]
	s_waitcnt lgkmcnt(0)
	s_barrier
	buffer_gl0_inv
	s_and_saveexec_b32 s12, s5
	s_cbranch_execz .LBB8_27
; %bb.24:                               ;   in Loop: Header=BB8_3 Depth=1
	ds_read_b64 v[6:7], v10
	ds_read_b64 v[8:9], v22
	s_waitcnt lgkmcnt(0)
	v_cmp_eq_u64_e32 vcc_lo, v[6:7], v[8:9]
	v_mov_b32_e32 v6, 0
	v_mov_b32_e32 v7, 0
	s_and_saveexec_b32 s13, vcc_lo
; %bb.25:                               ;   in Loop: Header=BB8_3 Depth=1
	ds_read_b64 v[6:7], v23
; %bb.26:                               ;   in Loop: Header=BB8_3 Depth=1
	s_or_b32 exec_lo, exec_lo, s13
.LBB8_27:                               ;   in Loop: Header=BB8_3 Depth=1
	;; [unrolled: 56-line block ×4, first 2 shown]
	s_or_b32 exec_lo, exec_lo, s12
	s_waitcnt lgkmcnt(0)
	s_barrier
	buffer_gl0_inv
	ds_read_b64 v[8:9], v11
	s_waitcnt lgkmcnt(0)
	v_add_f64 v[6:7], v[6:7], v[8:9]
	v_mov_b32_e32 v8, -1
	v_mov_b32_e32 v9, -1
	ds_write_b64 v11, v[6:7]
	s_waitcnt lgkmcnt(0)
	s_barrier
	buffer_gl0_inv
	ds_read_b64 v[6:7], v10
	s_and_saveexec_b32 s12, s6
; %bb.44:                               ;   in Loop: Header=BB8_3 Depth=1
	ds_read_b64 v[8:9], v10 offset:8
; %bb.45:                               ;   in Loop: Header=BB8_3 Depth=1
	s_or_b32 exec_lo, exec_lo, s12
	s_waitcnt lgkmcnt(0)
	v_cmp_ne_u64_e32 vcc_lo, v[6:7], v[8:9]
	v_cmp_lt_i64_e64 s12, -1, v[6:7]
	s_and_b32 s13, s12, vcc_lo
	s_and_saveexec_b32 s12, s13
	s_cbranch_execz .LBB8_2
; %bb.46:                               ;   in Loop: Header=BB8_3 Depth=1
	s_and_b32 vcc_lo, exec_lo, s24
	s_mov_b32 s13, -1
	s_cbranch_vccz .LBB8_48
; %bb.47:                               ;   in Loop: Header=BB8_3 Depth=1
	v_mul_lo_u32 v32, v7, s18
	v_mul_lo_u32 v33, v6, s19
	v_mad_u64_u32 v[8:9], null, v6, s18, 0
	ds_read_b64 v[34:35], v11
	s_mov_b32 s13, 0
	v_add3_u32 v9, v9, v33, v32
	v_lshlrev_b64 v[8:9], 3, v[8:9]
	v_add_co_u32 v8, vcc_lo, s22, v8
	v_add_co_ci_u32_e64 v9, null, s23, v9, vcc_lo
	global_load_dwordx2 v[32:33], v[8:9], off
	s_waitcnt vmcnt(0) lgkmcnt(0)
	v_add_f64 v[32:33], v[32:33], v[34:35]
	global_store_dwordx2 v[8:9], v[32:33], off
.LBB8_48:                               ;   in Loop: Header=BB8_3 Depth=1
	s_andn2_b32 vcc_lo, exec_lo, s13
	s_cbranch_vccnz .LBB8_2
; %bb.49:                               ;   in Loop: Header=BB8_3 Depth=1
	v_lshlrev_b64 v[6:7], 3, v[6:7]
	ds_read_b64 v[32:33], v11
	v_add_co_u32 v6, vcc_lo, s16, v6
	v_add_co_ci_u32_e64 v7, null, s17, v7, vcc_lo
	global_load_dwordx2 v[8:9], v[6:7], off
	s_waitcnt vmcnt(0) lgkmcnt(0)
	v_add_f64 v[8:9], v[8:9], v[32:33]
	global_store_dwordx2 v[6:7], v[8:9], off
	s_branch .LBB8_2
.LBB8_50:
	s_endpgm
	.section	.rodata,"a",@progbits
	.p2align	6, 0x0
	.amdhsa_kernel _ZN9rocsparseL28csrmmnn_general_block_reduceILj1024EllddEEvT0_PKT1_PKT3_PT2_l16rocsparse_order_
		.amdhsa_group_segment_fixed_size 16384
		.amdhsa_private_segment_fixed_size 0
		.amdhsa_kernarg_size 44
		.amdhsa_user_sgpr_count 6
		.amdhsa_user_sgpr_private_segment_buffer 1
		.amdhsa_user_sgpr_dispatch_ptr 0
		.amdhsa_user_sgpr_queue_ptr 0
		.amdhsa_user_sgpr_kernarg_segment_ptr 1
		.amdhsa_user_sgpr_dispatch_id 0
		.amdhsa_user_sgpr_flat_scratch_init 0
		.amdhsa_user_sgpr_private_segment_size 0
		.amdhsa_wavefront_size32 1
		.amdhsa_uses_dynamic_stack 0
		.amdhsa_system_sgpr_private_segment_wavefront_offset 0
		.amdhsa_system_sgpr_workgroup_id_x 1
		.amdhsa_system_sgpr_workgroup_id_y 0
		.amdhsa_system_sgpr_workgroup_id_z 0
		.amdhsa_system_sgpr_workgroup_info 0
		.amdhsa_system_vgpr_workitem_id 0
		.amdhsa_next_free_vgpr 36
		.amdhsa_next_free_sgpr 28
		.amdhsa_reserve_vcc 1
		.amdhsa_reserve_flat_scratch 0
		.amdhsa_float_round_mode_32 0
		.amdhsa_float_round_mode_16_64 0
		.amdhsa_float_denorm_mode_32 3
		.amdhsa_float_denorm_mode_16_64 3
		.amdhsa_dx10_clamp 1
		.amdhsa_ieee_mode 1
		.amdhsa_fp16_overflow 0
		.amdhsa_workgroup_processor_mode 1
		.amdhsa_memory_ordered 1
		.amdhsa_forward_progress 1
		.amdhsa_shared_vgpr_count 0
		.amdhsa_exception_fp_ieee_invalid_op 0
		.amdhsa_exception_fp_denorm_src 0
		.amdhsa_exception_fp_ieee_div_zero 0
		.amdhsa_exception_fp_ieee_overflow 0
		.amdhsa_exception_fp_ieee_underflow 0
		.amdhsa_exception_fp_ieee_inexact 0
		.amdhsa_exception_int_div_zero 0
	.end_amdhsa_kernel
	.section	.text._ZN9rocsparseL28csrmmnn_general_block_reduceILj1024EllddEEvT0_PKT1_PKT3_PT2_l16rocsparse_order_,"axG",@progbits,_ZN9rocsparseL28csrmmnn_general_block_reduceILj1024EllddEEvT0_PKT1_PKT3_PT2_l16rocsparse_order_,comdat
.Lfunc_end8:
	.size	_ZN9rocsparseL28csrmmnn_general_block_reduceILj1024EllddEEvT0_PKT1_PKT3_PT2_l16rocsparse_order_, .Lfunc_end8-_ZN9rocsparseL28csrmmnn_general_block_reduceILj1024EllddEEvT0_PKT1_PKT3_PT2_l16rocsparse_order_
                                        ; -- End function
	.set _ZN9rocsparseL28csrmmnn_general_block_reduceILj1024EllddEEvT0_PKT1_PKT3_PT2_l16rocsparse_order_.num_vgpr, 36
	.set _ZN9rocsparseL28csrmmnn_general_block_reduceILj1024EllddEEvT0_PKT1_PKT3_PT2_l16rocsparse_order_.num_agpr, 0
	.set _ZN9rocsparseL28csrmmnn_general_block_reduceILj1024EllddEEvT0_PKT1_PKT3_PT2_l16rocsparse_order_.numbered_sgpr, 28
	.set _ZN9rocsparseL28csrmmnn_general_block_reduceILj1024EllddEEvT0_PKT1_PKT3_PT2_l16rocsparse_order_.num_named_barrier, 0
	.set _ZN9rocsparseL28csrmmnn_general_block_reduceILj1024EllddEEvT0_PKT1_PKT3_PT2_l16rocsparse_order_.private_seg_size, 0
	.set _ZN9rocsparseL28csrmmnn_general_block_reduceILj1024EllddEEvT0_PKT1_PKT3_PT2_l16rocsparse_order_.uses_vcc, 1
	.set _ZN9rocsparseL28csrmmnn_general_block_reduceILj1024EllddEEvT0_PKT1_PKT3_PT2_l16rocsparse_order_.uses_flat_scratch, 0
	.set _ZN9rocsparseL28csrmmnn_general_block_reduceILj1024EllddEEvT0_PKT1_PKT3_PT2_l16rocsparse_order_.has_dyn_sized_stack, 0
	.set _ZN9rocsparseL28csrmmnn_general_block_reduceILj1024EllddEEvT0_PKT1_PKT3_PT2_l16rocsparse_order_.has_recursion, 0
	.set _ZN9rocsparseL28csrmmnn_general_block_reduceILj1024EllddEEvT0_PKT1_PKT3_PT2_l16rocsparse_order_.has_indirect_call, 0
	.section	.AMDGPU.csdata,"",@progbits
; Kernel info:
; codeLenInByte = 2128
; TotalNumSgprs: 30
; NumVgprs: 36
; ScratchSize: 0
; MemoryBound: 0
; FloatMode: 240
; IeeeMode: 1
; LDSByteSize: 16384 bytes/workgroup (compile time only)
; SGPRBlocks: 0
; VGPRBlocks: 4
; NumSGPRsForWavesPerEU: 30
; NumVGPRsForWavesPerEU: 36
; Occupancy: 16
; WaveLimiterHint : 0
; COMPUTE_PGM_RSRC2:SCRATCH_EN: 0
; COMPUTE_PGM_RSRC2:USER_SGPR: 6
; COMPUTE_PGM_RSRC2:TRAP_HANDLER: 0
; COMPUTE_PGM_RSRC2:TGID_X_EN: 1
; COMPUTE_PGM_RSRC2:TGID_Y_EN: 0
; COMPUTE_PGM_RSRC2:TGID_Z_EN: 0
; COMPUTE_PGM_RSRC2:TIDIG_COMP_CNT: 0
	.section	.text._ZN9rocsparseL28csrmmnn_general_block_reduceILj1024Eii21rocsparse_complex_numIfES2_EEvT0_PKT1_PKT3_PT2_l16rocsparse_order_,"axG",@progbits,_ZN9rocsparseL28csrmmnn_general_block_reduceILj1024Eii21rocsparse_complex_numIfES2_EEvT0_PKT1_PKT3_PT2_l16rocsparse_order_,comdat
	.globl	_ZN9rocsparseL28csrmmnn_general_block_reduceILj1024Eii21rocsparse_complex_numIfES2_EEvT0_PKT1_PKT3_PT2_l16rocsparse_order_ ; -- Begin function _ZN9rocsparseL28csrmmnn_general_block_reduceILj1024Eii21rocsparse_complex_numIfES2_EEvT0_PKT1_PKT3_PT2_l16rocsparse_order_
	.p2align	8
	.type	_ZN9rocsparseL28csrmmnn_general_block_reduceILj1024Eii21rocsparse_complex_numIfES2_EEvT0_PKT1_PKT3_PT2_l16rocsparse_order_,@function
_ZN9rocsparseL28csrmmnn_general_block_reduceILj1024Eii21rocsparse_complex_numIfES2_EEvT0_PKT1_PKT3_PT2_l16rocsparse_order_: ; @_ZN9rocsparseL28csrmmnn_general_block_reduceILj1024Eii21rocsparse_complex_numIfES2_EEvT0_PKT1_PKT3_PT2_l16rocsparse_order_
; %bb.0:
	s_load_dword s20, s[4:5], 0x0
	v_mov_b32_e32 v2, 0
	v_lshlrev_b32_e32 v3, 2, v0
	v_mov_b32_e32 v4, -1
	v_lshlrev_b32_e32 v7, 3, v0
	s_mov_b32 s21, 0
	v_mov_b32_e32 v1, v2
	s_mov_b32 s0, exec_lo
	ds_write_b32 v3, v4 offset:8192
	ds_write_b64 v7, v[1:2]
	s_waitcnt lgkmcnt(0)
	s_barrier
	buffer_gl0_inv
	v_cmpx_gt_i32_e64 s20, v0
	s_cbranch_execz .LBB9_51
; %bb.1:
	s_clause 0x1
	s_load_dwordx8 s[12:19], s[4:5], 0x8
	s_load_dword s7, s[4:5], 0x28
	v_or_b32_e32 v8, 0x2000, v3
	v_cmp_ne_u32_e64 s0, 0, v0
	v_add_nc_u32_e32 v9, -8, v7
	v_cmp_lt_u32_e64 s1, 1, v0
	v_add_nc_u32_e32 v12, -16, v7
	v_add_nc_u32_e32 v10, -4, v8
	v_add_nc_u32_e32 v11, -8, v8
	v_cmp_lt_u32_e64 s2, 3, v0
	v_add_nc_u32_e32 v13, -16, v8
	v_subrev_nc_u32_e32 v14, 32, v7
	v_cmp_lt_u32_e64 s3, 7, v0
	v_subrev_nc_u32_e32 v15, 32, v8
	v_subrev_nc_u32_e32 v16, 64, v7
	v_cmp_lt_u32_e64 s4, 15, v0
	v_subrev_nc_u32_e32 v17, 64, v8
	v_add_nc_u32_e32 v18, 0xffffff80, v7
	v_cmp_lt_u32_e64 s5, 31, v0
	v_add_nc_u32_e32 v19, 0xffffff80, v8
	s_waitcnt lgkmcnt(0)
	s_mul_hi_u32 s26, s18, s6
	s_cmp_lg_u32 s7, 1
	v_add_nc_u32_e32 v20, 0xffffff00, v7
	s_cselect_b32 s22, -1, 0
	s_ashr_i32 s7, s6, 31
	v_cmp_lt_u32_e64 s8, 63, v0
	s_lshl_b64 s[24:25], s[6:7], 3
	s_mul_i32 s7, s18, s7
	s_add_u32 s23, s16, s24
	s_addc_u32 s24, s17, s25
	s_add_i32 s7, s26, s7
	s_mul_i32 s25, s19, s6
	s_mul_i32 s26, s18, s6
	s_add_i32 s27, s7, s25
	v_add_nc_u32_e32 v21, 0xffffff00, v8
	v_add_nc_u32_e32 v22, 0xfffffe00, v7
	v_cmp_lt_u32_e64 s9, 0x7f, v0
	v_add_nc_u32_e32 v23, 0xfffffe00, v8
	v_add_nc_u32_e32 v24, 0xfffffc00, v7
	v_cmp_lt_u32_e64 s10, 0xff, v0
	;; [unrolled: 3-line block ×3, first 2 shown]
	v_add_nc_u32_e32 v27, 0xfffff800, v8
	v_add_nc_u32_e32 v28, 0xfffff000, v7
	v_cmp_ne_u32_e64 s7, 0x3ff, v0
	s_lshl_b64 s[26:27], s[26:27], 3
	s_mul_i32 s25, s20, s6
	s_add_u32 s16, s16, s26
	s_addc_u32 s17, s17, s27
	s_branch .LBB9_4
.LBB9_2:                                ;   in Loop: Header=BB9_4 Depth=1
	global_store_dword v[3:4], v5, off offset:4
.LBB9_3:                                ;   in Loop: Header=BB9_4 Depth=1
	s_or_b32 exec_lo, exec_lo, s6
	v_add_nc_u32_e32 v0, 0x400, v0
	s_waitcnt_vscnt null, 0x0
	s_barrier
	buffer_gl0_inv
	v_cmp_le_i32_e32 vcc_lo, s20, v0
	s_or_b32 s21, vcc_lo, s21
	s_andn2_b32 exec_lo, exec_lo, s21
	s_cbranch_execz .LBB9_51
.LBB9_4:                                ; =>This Inner Loop Header: Depth=1
	v_add_nc_u32_e32 v3, s25, v0
	v_ashrrev_i32_e32 v1, 31, v0
	v_ashrrev_i32_e32 v4, 31, v3
	v_lshlrev_b64 v[5:6], 2, v[0:1]
	v_lshlrev_b64 v[3:4], 3, v[3:4]
	v_add_co_u32 v5, vcc_lo, s12, v5
	v_add_co_ci_u32_e64 v6, null, s13, v6, vcc_lo
	v_add_co_u32 v3, vcc_lo, s14, v3
	v_add_co_ci_u32_e64 v4, null, s15, v4, vcc_lo
	global_load_dword v1, v[5:6], off
	global_load_dwordx2 v[5:6], v[3:4], off
	v_mov_b32_e32 v4, 0
	v_mov_b32_e32 v3, 0
	s_waitcnt vmcnt(1)
	ds_write_b32 v8, v1
	s_waitcnt vmcnt(0)
	ds_write_b64 v7, v[5:6]
	s_waitcnt lgkmcnt(0)
	s_barrier
	buffer_gl0_inv
	s_and_saveexec_b32 s6, s0
	s_cbranch_execz .LBB9_8
; %bb.5:                                ;   in Loop: Header=BB9_4 Depth=1
	ds_read2_b32 v[4:5], v10 offset1:1
	v_mov_b32_e32 v3, 0
	s_waitcnt lgkmcnt(0)
	v_cmp_eq_u32_e32 vcc_lo, v5, v4
	v_mov_b32_e32 v4, 0
	s_and_saveexec_b32 s26, vcc_lo
; %bb.6:                                ;   in Loop: Header=BB9_4 Depth=1
	ds_read_b64 v[3:4], v9
; %bb.7:                                ;   in Loop: Header=BB9_4 Depth=1
	s_or_b32 exec_lo, exec_lo, s26
.LBB9_8:                                ;   in Loop: Header=BB9_4 Depth=1
	s_or_b32 exec_lo, exec_lo, s6
	s_waitcnt lgkmcnt(0)
	s_barrier
	buffer_gl0_inv
	ds_read_b64 v[5:6], v7
	s_waitcnt lgkmcnt(0)
	v_add_f32_e32 v29, v3, v5
	v_add_f32_e32 v30, v4, v6
	v_mov_b32_e32 v4, 0
	v_mov_b32_e32 v6, 0
	;; [unrolled: 1-line block ×3, first 2 shown]
	ds_write_b64 v7, v[29:30]
	s_waitcnt lgkmcnt(0)
	s_barrier
	buffer_gl0_inv
	s_and_saveexec_b32 s6, s1
	s_cbranch_execz .LBB9_12
; %bb.9:                                ;   in Loop: Header=BB9_4 Depth=1
	ds_read_b32 v1, v8
	ds_read_b32 v3, v11
	v_mov_b32_e32 v5, 0
	v_mov_b32_e32 v6, 0
	s_mov_b32 s26, exec_lo
	s_waitcnt lgkmcnt(0)
	v_cmpx_eq_u32_e64 v1, v3
; %bb.10:                               ;   in Loop: Header=BB9_4 Depth=1
	ds_read_b64 v[5:6], v12
; %bb.11:                               ;   in Loop: Header=BB9_4 Depth=1
	s_or_b32 exec_lo, exec_lo, s26
.LBB9_12:                               ;   in Loop: Header=BB9_4 Depth=1
	s_or_b32 exec_lo, exec_lo, s6
	s_waitcnt lgkmcnt(0)
	s_barrier
	buffer_gl0_inv
	ds_read_b64 v[29:30], v7
	v_mov_b32_e32 v3, 0
	s_waitcnt lgkmcnt(0)
	v_add_f32_e32 v5, v5, v29
	v_add_f32_e32 v6, v6, v30
	ds_write_b64 v7, v[5:6]
	s_waitcnt lgkmcnt(0)
	s_barrier
	buffer_gl0_inv
	s_and_saveexec_b32 s6, s2
	s_cbranch_execz .LBB9_16
; %bb.13:                               ;   in Loop: Header=BB9_4 Depth=1
	ds_read_b32 v1, v8
	ds_read_b32 v4, v13
	v_mov_b32_e32 v3, 0
	s_waitcnt lgkmcnt(0)
	v_cmp_eq_u32_e32 vcc_lo, v1, v4
	v_mov_b32_e32 v4, 0
	s_and_saveexec_b32 s26, vcc_lo
; %bb.14:                               ;   in Loop: Header=BB9_4 Depth=1
	ds_read_b64 v[3:4], v14
; %bb.15:                               ;   in Loop: Header=BB9_4 Depth=1
	s_or_b32 exec_lo, exec_lo, s26
.LBB9_16:                               ;   in Loop: Header=BB9_4 Depth=1
	s_or_b32 exec_lo, exec_lo, s6
	s_waitcnt lgkmcnt(0)
	s_barrier
	buffer_gl0_inv
	ds_read_b64 v[5:6], v7
	s_waitcnt lgkmcnt(0)
	v_add_f32_e32 v29, v3, v5
	v_add_f32_e32 v30, v4, v6
	v_mov_b32_e32 v4, 0
	v_mov_b32_e32 v6, 0
	v_mov_b32_e32 v5, 0
	ds_write_b64 v7, v[29:30]
	s_waitcnt lgkmcnt(0)
	s_barrier
	buffer_gl0_inv
	s_and_saveexec_b32 s6, s3
	s_cbranch_execz .LBB9_20
; %bb.17:                               ;   in Loop: Header=BB9_4 Depth=1
	ds_read_b32 v1, v8
	ds_read_b32 v3, v15
	v_mov_b32_e32 v5, 0
	v_mov_b32_e32 v6, 0
	s_mov_b32 s26, exec_lo
	s_waitcnt lgkmcnt(0)
	v_cmpx_eq_u32_e64 v1, v3
; %bb.18:                               ;   in Loop: Header=BB9_4 Depth=1
	ds_read_b64 v[5:6], v16
; %bb.19:                               ;   in Loop: Header=BB9_4 Depth=1
	s_or_b32 exec_lo, exec_lo, s26
.LBB9_20:                               ;   in Loop: Header=BB9_4 Depth=1
	s_or_b32 exec_lo, exec_lo, s6
	s_waitcnt lgkmcnt(0)
	s_barrier
	buffer_gl0_inv
	ds_read_b64 v[29:30], v7
	v_mov_b32_e32 v3, 0
	s_waitcnt lgkmcnt(0)
	v_add_f32_e32 v5, v5, v29
	v_add_f32_e32 v6, v6, v30
	ds_write_b64 v7, v[5:6]
	s_waitcnt lgkmcnt(0)
	s_barrier
	buffer_gl0_inv
	s_and_saveexec_b32 s6, s4
	s_cbranch_execz .LBB9_24
; %bb.21:                               ;   in Loop: Header=BB9_4 Depth=1
	ds_read_b32 v1, v8
	ds_read_b32 v4, v17
	v_mov_b32_e32 v3, 0
	s_waitcnt lgkmcnt(0)
	v_cmp_eq_u32_e32 vcc_lo, v1, v4
	v_mov_b32_e32 v4, 0
	s_and_saveexec_b32 s26, vcc_lo
; %bb.22:                               ;   in Loop: Header=BB9_4 Depth=1
	ds_read_b64 v[3:4], v18
; %bb.23:                               ;   in Loop: Header=BB9_4 Depth=1
	s_or_b32 exec_lo, exec_lo, s26
.LBB9_24:                               ;   in Loop: Header=BB9_4 Depth=1
	s_or_b32 exec_lo, exec_lo, s6
	s_waitcnt lgkmcnt(0)
	s_barrier
	buffer_gl0_inv
	ds_read_b64 v[5:6], v7
	s_waitcnt lgkmcnt(0)
	v_add_f32_e32 v29, v3, v5
	v_add_f32_e32 v30, v4, v6
	v_mov_b32_e32 v4, 0
	v_mov_b32_e32 v6, 0
	v_mov_b32_e32 v5, 0
	ds_write_b64 v7, v[29:30]
	s_waitcnt lgkmcnt(0)
	s_barrier
	buffer_gl0_inv
	s_and_saveexec_b32 s6, s5
	s_cbranch_execz .LBB9_28
; %bb.25:                               ;   in Loop: Header=BB9_4 Depth=1
	ds_read_b32 v1, v8
	ds_read_b32 v3, v19
	v_mov_b32_e32 v5, 0
	v_mov_b32_e32 v6, 0
	s_mov_b32 s26, exec_lo
	s_waitcnt lgkmcnt(0)
	v_cmpx_eq_u32_e64 v1, v3
; %bb.26:                               ;   in Loop: Header=BB9_4 Depth=1
	ds_read_b64 v[5:6], v20
; %bb.27:                               ;   in Loop: Header=BB9_4 Depth=1
	s_or_b32 exec_lo, exec_lo, s26
.LBB9_28:                               ;   in Loop: Header=BB9_4 Depth=1
	;; [unrolled: 58-line block ×3, first 2 shown]
	s_or_b32 exec_lo, exec_lo, s6
	s_waitcnt lgkmcnt(0)
	s_barrier
	buffer_gl0_inv
	ds_read_b64 v[29:30], v7
	v_mov_b32_e32 v3, 0
	s_waitcnt lgkmcnt(0)
	v_add_f32_e32 v5, v5, v29
	v_add_f32_e32 v6, v6, v30
	ds_write_b64 v7, v[5:6]
	s_waitcnt lgkmcnt(0)
	s_barrier
	buffer_gl0_inv
	s_and_saveexec_b32 s6, s10
	s_cbranch_execz .LBB9_40
; %bb.37:                               ;   in Loop: Header=BB9_4 Depth=1
	ds_read_b32 v1, v8
	ds_read_b32 v4, v25
	v_mov_b32_e32 v3, 0
	s_waitcnt lgkmcnt(0)
	v_cmp_eq_u32_e32 vcc_lo, v1, v4
	v_mov_b32_e32 v4, 0
	s_and_saveexec_b32 s26, vcc_lo
; %bb.38:                               ;   in Loop: Header=BB9_4 Depth=1
	ds_read_b64 v[3:4], v26
; %bb.39:                               ;   in Loop: Header=BB9_4 Depth=1
	s_or_b32 exec_lo, exec_lo, s26
.LBB9_40:                               ;   in Loop: Header=BB9_4 Depth=1
	s_or_b32 exec_lo, exec_lo, s6
	s_waitcnt lgkmcnt(0)
	s_barrier
	buffer_gl0_inv
	ds_read_b64 v[5:6], v7
	s_waitcnt lgkmcnt(0)
	v_add_f32_e32 v5, v3, v5
	v_add_f32_e32 v6, v4, v6
	v_mov_b32_e32 v4, 0
	v_mov_b32_e32 v3, 0
	ds_write_b64 v7, v[5:6]
	s_waitcnt lgkmcnt(0)
	s_barrier
	buffer_gl0_inv
	s_and_saveexec_b32 s6, s11
	s_cbranch_execz .LBB9_44
; %bb.41:                               ;   in Loop: Header=BB9_4 Depth=1
	ds_read_b32 v1, v8
	ds_read_b32 v4, v27
	v_mov_b32_e32 v3, 0
	s_waitcnt lgkmcnt(0)
	v_cmp_eq_u32_e32 vcc_lo, v1, v4
	v_mov_b32_e32 v4, 0
	s_and_saveexec_b32 s26, vcc_lo
; %bb.42:                               ;   in Loop: Header=BB9_4 Depth=1
	ds_read_b64 v[3:4], v28
; %bb.43:                               ;   in Loop: Header=BB9_4 Depth=1
	s_or_b32 exec_lo, exec_lo, s26
.LBB9_44:                               ;   in Loop: Header=BB9_4 Depth=1
	s_or_b32 exec_lo, exec_lo, s6
	s_waitcnt lgkmcnt(0)
	s_barrier
	buffer_gl0_inv
	ds_read_b64 v[5:6], v7
	s_waitcnt lgkmcnt(0)
	v_add_f32_e32 v3, v3, v5
	v_add_f32_e32 v4, v4, v6
	ds_write_b64 v7, v[3:4]
	s_waitcnt lgkmcnt(0)
	s_barrier
	buffer_gl0_inv
	ds_read_b32 v1, v8
	v_mov_b32_e32 v3, -1
	s_and_saveexec_b32 s6, s7
; %bb.45:                               ;   in Loop: Header=BB9_4 Depth=1
	ds_read_b32 v3, v8 offset:4
; %bb.46:                               ;   in Loop: Header=BB9_4 Depth=1
	s_or_b32 exec_lo, exec_lo, s6
	s_waitcnt lgkmcnt(0)
	v_cmp_ne_u32_e32 vcc_lo, v1, v3
	v_cmp_lt_i32_e64 s6, -1, v1
	s_and_b32 s26, s6, vcc_lo
	s_and_saveexec_b32 s6, s26
	s_cbranch_execz .LBB9_3
; %bb.47:                               ;   in Loop: Header=BB9_4 Depth=1
	s_and_b32 vcc_lo, exec_lo, s22
	s_mov_b32 s26, -1
                                        ; implicit-def: $vgpr5
                                        ; implicit-def: $vgpr3_vgpr4
	s_cbranch_vccz .LBB9_49
; %bb.48:                               ;   in Loop: Header=BB9_4 Depth=1
	v_mad_u64_u32 v[3:4], null, s18, v1, 0
	ds_read_b64 v[29:30], v7
	s_mov_b32 s26, 0
	v_mad_u64_u32 v[4:5], null, s19, v1, v[4:5]
	v_lshlrev_b64 v[3:4], 3, v[3:4]
	v_add_co_u32 v3, vcc_lo, s23, v3
	v_add_co_ci_u32_e64 v4, null, s24, v4, vcc_lo
	global_load_dwordx2 v[5:6], v[3:4], off
	s_waitcnt vmcnt(0) lgkmcnt(0)
	v_add_f32_e32 v29, v29, v5
	v_add_f32_e32 v5, v30, v6
	global_store_dword v[3:4], v29, off
.LBB9_49:                               ;   in Loop: Header=BB9_4 Depth=1
	s_andn2_b32 vcc_lo, exec_lo, s26
	s_cbranch_vccnz .LBB9_2
; %bb.50:                               ;   in Loop: Header=BB9_4 Depth=1
	v_lshlrev_b64 v[3:4], 3, v[1:2]
	ds_read_b64 v[29:30], v7
	v_add_co_u32 v3, vcc_lo, s16, v3
	v_add_co_ci_u32_e64 v4, null, s17, v4, vcc_lo
	global_load_dwordx2 v[5:6], v[3:4], off
	s_waitcnt vmcnt(0) lgkmcnt(0)
	v_add_f32_e32 v1, v29, v5
	v_add_f32_e32 v5, v30, v6
	global_store_dword v[3:4], v1, off
	s_branch .LBB9_2
.LBB9_51:
	s_endpgm
	.section	.rodata,"a",@progbits
	.p2align	6, 0x0
	.amdhsa_kernel _ZN9rocsparseL28csrmmnn_general_block_reduceILj1024Eii21rocsparse_complex_numIfES2_EEvT0_PKT1_PKT3_PT2_l16rocsparse_order_
		.amdhsa_group_segment_fixed_size 12288
		.amdhsa_private_segment_fixed_size 0
		.amdhsa_kernarg_size 44
		.amdhsa_user_sgpr_count 6
		.amdhsa_user_sgpr_private_segment_buffer 1
		.amdhsa_user_sgpr_dispatch_ptr 0
		.amdhsa_user_sgpr_queue_ptr 0
		.amdhsa_user_sgpr_kernarg_segment_ptr 1
		.amdhsa_user_sgpr_dispatch_id 0
		.amdhsa_user_sgpr_flat_scratch_init 0
		.amdhsa_user_sgpr_private_segment_size 0
		.amdhsa_wavefront_size32 1
		.amdhsa_uses_dynamic_stack 0
		.amdhsa_system_sgpr_private_segment_wavefront_offset 0
		.amdhsa_system_sgpr_workgroup_id_x 1
		.amdhsa_system_sgpr_workgroup_id_y 0
		.amdhsa_system_sgpr_workgroup_id_z 0
		.amdhsa_system_sgpr_workgroup_info 0
		.amdhsa_system_vgpr_workitem_id 0
		.amdhsa_next_free_vgpr 31
		.amdhsa_next_free_sgpr 28
		.amdhsa_reserve_vcc 1
		.amdhsa_reserve_flat_scratch 0
		.amdhsa_float_round_mode_32 0
		.amdhsa_float_round_mode_16_64 0
		.amdhsa_float_denorm_mode_32 3
		.amdhsa_float_denorm_mode_16_64 3
		.amdhsa_dx10_clamp 1
		.amdhsa_ieee_mode 1
		.amdhsa_fp16_overflow 0
		.amdhsa_workgroup_processor_mode 1
		.amdhsa_memory_ordered 1
		.amdhsa_forward_progress 1
		.amdhsa_shared_vgpr_count 0
		.amdhsa_exception_fp_ieee_invalid_op 0
		.amdhsa_exception_fp_denorm_src 0
		.amdhsa_exception_fp_ieee_div_zero 0
		.amdhsa_exception_fp_ieee_overflow 0
		.amdhsa_exception_fp_ieee_underflow 0
		.amdhsa_exception_fp_ieee_inexact 0
		.amdhsa_exception_int_div_zero 0
	.end_amdhsa_kernel
	.section	.text._ZN9rocsparseL28csrmmnn_general_block_reduceILj1024Eii21rocsparse_complex_numIfES2_EEvT0_PKT1_PKT3_PT2_l16rocsparse_order_,"axG",@progbits,_ZN9rocsparseL28csrmmnn_general_block_reduceILj1024Eii21rocsparse_complex_numIfES2_EEvT0_PKT1_PKT3_PT2_l16rocsparse_order_,comdat
.Lfunc_end9:
	.size	_ZN9rocsparseL28csrmmnn_general_block_reduceILj1024Eii21rocsparse_complex_numIfES2_EEvT0_PKT1_PKT3_PT2_l16rocsparse_order_, .Lfunc_end9-_ZN9rocsparseL28csrmmnn_general_block_reduceILj1024Eii21rocsparse_complex_numIfES2_EEvT0_PKT1_PKT3_PT2_l16rocsparse_order_
                                        ; -- End function
	.set _ZN9rocsparseL28csrmmnn_general_block_reduceILj1024Eii21rocsparse_complex_numIfES2_EEvT0_PKT1_PKT3_PT2_l16rocsparse_order_.num_vgpr, 31
	.set _ZN9rocsparseL28csrmmnn_general_block_reduceILj1024Eii21rocsparse_complex_numIfES2_EEvT0_PKT1_PKT3_PT2_l16rocsparse_order_.num_agpr, 0
	.set _ZN9rocsparseL28csrmmnn_general_block_reduceILj1024Eii21rocsparse_complex_numIfES2_EEvT0_PKT1_PKT3_PT2_l16rocsparse_order_.numbered_sgpr, 28
	.set _ZN9rocsparseL28csrmmnn_general_block_reduceILj1024Eii21rocsparse_complex_numIfES2_EEvT0_PKT1_PKT3_PT2_l16rocsparse_order_.num_named_barrier, 0
	.set _ZN9rocsparseL28csrmmnn_general_block_reduceILj1024Eii21rocsparse_complex_numIfES2_EEvT0_PKT1_PKT3_PT2_l16rocsparse_order_.private_seg_size, 0
	.set _ZN9rocsparseL28csrmmnn_general_block_reduceILj1024Eii21rocsparse_complex_numIfES2_EEvT0_PKT1_PKT3_PT2_l16rocsparse_order_.uses_vcc, 1
	.set _ZN9rocsparseL28csrmmnn_general_block_reduceILj1024Eii21rocsparse_complex_numIfES2_EEvT0_PKT1_PKT3_PT2_l16rocsparse_order_.uses_flat_scratch, 0
	.set _ZN9rocsparseL28csrmmnn_general_block_reduceILj1024Eii21rocsparse_complex_numIfES2_EEvT0_PKT1_PKT3_PT2_l16rocsparse_order_.has_dyn_sized_stack, 0
	.set _ZN9rocsparseL28csrmmnn_general_block_reduceILj1024Eii21rocsparse_complex_numIfES2_EEvT0_PKT1_PKT3_PT2_l16rocsparse_order_.has_recursion, 0
	.set _ZN9rocsparseL28csrmmnn_general_block_reduceILj1024Eii21rocsparse_complex_numIfES2_EEvT0_PKT1_PKT3_PT2_l16rocsparse_order_.has_indirect_call, 0
	.section	.AMDGPU.csdata,"",@progbits
; Kernel info:
; codeLenInByte = 2088
; TotalNumSgprs: 30
; NumVgprs: 31
; ScratchSize: 0
; MemoryBound: 0
; FloatMode: 240
; IeeeMode: 1
; LDSByteSize: 12288 bytes/workgroup (compile time only)
; SGPRBlocks: 0
; VGPRBlocks: 3
; NumSGPRsForWavesPerEU: 30
; NumVGPRsForWavesPerEU: 31
; Occupancy: 16
; WaveLimiterHint : 0
; COMPUTE_PGM_RSRC2:SCRATCH_EN: 0
; COMPUTE_PGM_RSRC2:USER_SGPR: 6
; COMPUTE_PGM_RSRC2:TRAP_HANDLER: 0
; COMPUTE_PGM_RSRC2:TGID_X_EN: 1
; COMPUTE_PGM_RSRC2:TGID_Y_EN: 0
; COMPUTE_PGM_RSRC2:TGID_Z_EN: 0
; COMPUTE_PGM_RSRC2:TIDIG_COMP_CNT: 0
	.section	.text._ZN9rocsparseL28csrmmnn_general_block_reduceILj1024Eli21rocsparse_complex_numIfES2_EEvT0_PKT1_PKT3_PT2_l16rocsparse_order_,"axG",@progbits,_ZN9rocsparseL28csrmmnn_general_block_reduceILj1024Eli21rocsparse_complex_numIfES2_EEvT0_PKT1_PKT3_PT2_l16rocsparse_order_,comdat
	.globl	_ZN9rocsparseL28csrmmnn_general_block_reduceILj1024Eli21rocsparse_complex_numIfES2_EEvT0_PKT1_PKT3_PT2_l16rocsparse_order_ ; -- Begin function _ZN9rocsparseL28csrmmnn_general_block_reduceILj1024Eli21rocsparse_complex_numIfES2_EEvT0_PKT1_PKT3_PT2_l16rocsparse_order_
	.p2align	8
	.type	_ZN9rocsparseL28csrmmnn_general_block_reduceILj1024Eli21rocsparse_complex_numIfES2_EEvT0_PKT1_PKT3_PT2_l16rocsparse_order_,@function
_ZN9rocsparseL28csrmmnn_general_block_reduceILj1024Eli21rocsparse_complex_numIfES2_EEvT0_PKT1_PKT3_PT2_l16rocsparse_order_: ; @_ZN9rocsparseL28csrmmnn_general_block_reduceILj1024Eli21rocsparse_complex_numIfES2_EEvT0_PKT1_PKT3_PT2_l16rocsparse_order_
; %bb.0:
	s_load_dwordx2 s[20:21], s[4:5], 0x0
	v_mov_b32_e32 v2, -1
	v_mov_b32_e32 v1, 0
	v_lshlrev_b32_e32 v10, 3, v0
	s_mov_b32 s7, 0
	s_mov_b32 s0, exec_lo
	v_mov_b32_e32 v3, v2
	v_mov_b32_e32 v4, v1
	;; [unrolled: 1-line block ×3, first 2 shown]
	ds_write2st64_b64 v10, v[2:3], v[4:5] offset1:16
	s_waitcnt lgkmcnt(0)
	s_barrier
	buffer_gl0_inv
	v_cmpx_gt_i64_e64 s[20:21], v[0:1]
	s_cbranch_execz .LBB10_51
; %bb.1:
	s_clause 0x1
	s_load_dwordx8 s[12:19], s[4:5], 0x8
	s_load_dword s24, s[4:5], 0x28
	s_lshl_b64 s[8:9], s[6:7], 3
	v_lshlrev_b32_e32 v2, 3, v0
	v_lshlrev_b32_e32 v4, 2, v0
	v_or_b32_e32 v11, 0x2000, v10
	v_cmp_ne_u32_e64 s0, 0, v0
	v_add_nc_u32_e32 v12, -8, v10
	v_cmp_lt_u32_e64 s1, 1, v0
	v_add_nc_u32_e32 v13, -16, v10
	v_cmp_lt_u32_e64 s2, 3, v0
	v_subrev_nc_u32_e32 v14, 32, v10
	v_cmp_lt_u32_e64 s3, 7, v0
	v_subrev_nc_u32_e32 v15, 64, v10
	v_cmp_lt_u32_e64 s4, 15, v0
	v_add_nc_u32_e32 v16, 0xffffff80, v10
	v_cmp_lt_u32_e64 s5, 31, v0
	v_add_nc_u32_e32 v17, -8, v11
	v_add_nc_u32_e32 v18, -16, v11
	v_subrev_nc_u32_e32 v19, 32, v11
	s_waitcnt lgkmcnt(0)
	s_add_u32 s22, s16, s8
	s_addc_u32 s23, s17, s9
	s_cmp_lg_u32 s24, 1
	s_mul_i32 s25, s19, s6
	s_mul_hi_u32 s26, s18, s6
	s_cselect_b32 s24, -1, 0
	s_add_i32 s27, s26, s25
	s_mul_i32 s26, s18, s6
	s_mul_i32 s25, s21, s6
	s_lshl_b64 s[26:27], s[26:27], 3
	v_add_co_u32 v4, s12, s12, v4
	s_add_u32 s16, s16, s26
	s_mul_hi_u32 s26, s20, s6
	s_addc_u32 s17, s17, s27
	s_add_i32 s27, s26, s25
	s_mul_i32 s26, s20, s6
	v_subrev_nc_u32_e32 v20, 64, v11
	s_lshl_b64 s[26:27], s[26:27], 3
	v_add_nc_u32_e32 v21, 0xffffff80, v11
	s_add_u32 s14, s14, s26
	s_addc_u32 s15, s15, s27
	v_add_co_u32 v2, s14, s14, v2
	v_add_nc_u32_e32 v22, 0xffffff00, v10
	v_add_nc_u32_e32 v23, 0xffffff00, v11
	v_cmp_lt_u32_e64 s8, 63, v0
	v_add_nc_u32_e32 v24, 0xfffffe00, v10
	v_add_nc_u32_e32 v25, 0xfffffe00, v11
	v_cmp_lt_u32_e64 s9, 0x7f, v0
	;; [unrolled: 3-line block ×4, first 2 shown]
	v_add_nc_u32_e32 v30, 0xfffff000, v10
	v_add_nc_u32_e32 v31, 0xfffff000, v11
	v_cmp_ne_u32_e64 s6, 0x3ff, v0
	v_add_co_ci_u32_e64 v3, null, s15, 0, s14
	v_add_co_ci_u32_e64 v5, null, s13, 0, s12
	s_branch .LBB10_4
.LBB10_2:                               ;   in Loop: Header=BB10_4 Depth=1
	global_store_dword v[8:9], v32, off offset:4
.LBB10_3:                               ;   in Loop: Header=BB10_4 Depth=1
	s_or_b32 exec_lo, exec_lo, s12
	v_add_co_u32 v0, vcc_lo, 0x400, v0
	v_add_co_ci_u32_e64 v1, null, 0, v1, vcc_lo
	v_add_co_u32 v2, vcc_lo, 0x2000, v2
	v_add_co_ci_u32_e64 v3, null, 0, v3, vcc_lo
	v_cmp_le_i64_e32 vcc_lo, s[20:21], v[0:1]
	v_add_co_u32 v4, s12, 0x1000, v4
	v_add_co_ci_u32_e64 v5, null, 0, v5, s12
	s_waitcnt_vscnt null, 0x0
	s_or_b32 s7, vcc_lo, s7
	s_barrier
	buffer_gl0_inv
	s_andn2_b32 exec_lo, exec_lo, s7
	s_cbranch_execz .LBB10_51
.LBB10_4:                               ; =>This Inner Loop Header: Depth=1
	global_load_dword v32, v[4:5], off
	global_load_dwordx2 v[34:35], v[2:3], off
	v_mov_b32_e32 v7, 0
	v_mov_b32_e32 v9, 0
	;; [unrolled: 1-line block ×3, first 2 shown]
	s_waitcnt vmcnt(1)
	v_ashrrev_i32_e32 v33, 31, v32
	s_waitcnt vmcnt(0)
	ds_write_b64 v11, v[34:35]
	ds_write_b64 v10, v[32:33]
	s_waitcnt lgkmcnt(0)
	s_barrier
	buffer_gl0_inv
	s_and_saveexec_b32 s12, s0
	s_cbranch_execz .LBB10_8
; %bb.5:                                ;   in Loop: Header=BB10_4 Depth=1
	ds_read2_b64 v[32:35], v12 offset1:1
	v_mov_b32_e32 v8, 0
	v_mov_b32_e32 v9, 0
	s_mov_b32 s13, exec_lo
	s_waitcnt lgkmcnt(0)
	v_cmpx_eq_u64_e64 v[34:35], v[32:33]
; %bb.6:                                ;   in Loop: Header=BB10_4 Depth=1
	ds_read_b64 v[8:9], v17
; %bb.7:                                ;   in Loop: Header=BB10_4 Depth=1
	s_or_b32 exec_lo, exec_lo, s13
.LBB10_8:                               ;   in Loop: Header=BB10_4 Depth=1
	s_or_b32 exec_lo, exec_lo, s12
	s_waitcnt lgkmcnt(0)
	s_barrier
	buffer_gl0_inv
	ds_read_b64 v[32:33], v11
	v_mov_b32_e32 v6, 0
	s_waitcnt lgkmcnt(0)
	v_add_f32_e32 v8, v8, v32
	v_add_f32_e32 v9, v9, v33
	ds_write_b64 v11, v[8:9]
	s_waitcnt lgkmcnt(0)
	s_barrier
	buffer_gl0_inv
	s_and_saveexec_b32 s12, s1
	s_cbranch_execz .LBB10_12
; %bb.9:                                ;   in Loop: Header=BB10_4 Depth=1
	ds_read_b64 v[6:7], v10
	ds_read_b64 v[8:9], v13
	s_waitcnt lgkmcnt(0)
	v_cmp_eq_u64_e32 vcc_lo, v[6:7], v[8:9]
	v_mov_b32_e32 v6, 0
	v_mov_b32_e32 v7, 0
	s_and_saveexec_b32 s13, vcc_lo
; %bb.10:                               ;   in Loop: Header=BB10_4 Depth=1
	ds_read_b64 v[6:7], v18
; %bb.11:                               ;   in Loop: Header=BB10_4 Depth=1
	s_or_b32 exec_lo, exec_lo, s13
.LBB10_12:                              ;   in Loop: Header=BB10_4 Depth=1
	s_or_b32 exec_lo, exec_lo, s12
	s_waitcnt lgkmcnt(0)
	s_barrier
	buffer_gl0_inv
	ds_read_b64 v[8:9], v11
	s_waitcnt lgkmcnt(0)
	v_add_f32_e32 v32, v6, v8
	v_add_f32_e32 v33, v7, v9
	v_mov_b32_e32 v7, 0
	v_mov_b32_e32 v9, 0
	v_mov_b32_e32 v8, 0
	ds_write_b64 v11, v[32:33]
	s_waitcnt lgkmcnt(0)
	s_barrier
	buffer_gl0_inv
	s_and_saveexec_b32 s12, s2
	s_cbranch_execz .LBB10_16
; %bb.13:                               ;   in Loop: Header=BB10_4 Depth=1
	ds_read_b64 v[8:9], v10
	ds_read_b64 v[32:33], v14
	s_waitcnt lgkmcnt(0)
	v_cmp_eq_u64_e32 vcc_lo, v[8:9], v[32:33]
	v_mov_b32_e32 v8, 0
	v_mov_b32_e32 v9, 0
	s_and_saveexec_b32 s13, vcc_lo
; %bb.14:                               ;   in Loop: Header=BB10_4 Depth=1
	ds_read_b64 v[8:9], v19
; %bb.15:                               ;   in Loop: Header=BB10_4 Depth=1
	s_or_b32 exec_lo, exec_lo, s13
.LBB10_16:                              ;   in Loop: Header=BB10_4 Depth=1
	s_or_b32 exec_lo, exec_lo, s12
	s_waitcnt lgkmcnt(0)
	s_barrier
	buffer_gl0_inv
	ds_read_b64 v[32:33], v11
	v_mov_b32_e32 v6, 0
	s_waitcnt lgkmcnt(0)
	v_add_f32_e32 v8, v8, v32
	v_add_f32_e32 v9, v9, v33
	ds_write_b64 v11, v[8:9]
	s_waitcnt lgkmcnt(0)
	s_barrier
	buffer_gl0_inv
	s_and_saveexec_b32 s12, s3
	s_cbranch_execz .LBB10_20
; %bb.17:                               ;   in Loop: Header=BB10_4 Depth=1
	ds_read_b64 v[6:7], v10
	ds_read_b64 v[8:9], v15
	s_waitcnt lgkmcnt(0)
	v_cmp_eq_u64_e32 vcc_lo, v[6:7], v[8:9]
	v_mov_b32_e32 v6, 0
	v_mov_b32_e32 v7, 0
	s_and_saveexec_b32 s13, vcc_lo
; %bb.18:                               ;   in Loop: Header=BB10_4 Depth=1
	ds_read_b64 v[6:7], v20
; %bb.19:                               ;   in Loop: Header=BB10_4 Depth=1
	s_or_b32 exec_lo, exec_lo, s13
.LBB10_20:                              ;   in Loop: Header=BB10_4 Depth=1
	s_or_b32 exec_lo, exec_lo, s12
	s_waitcnt lgkmcnt(0)
	s_barrier
	buffer_gl0_inv
	ds_read_b64 v[8:9], v11
	s_waitcnt lgkmcnt(0)
	v_add_f32_e32 v32, v6, v8
	v_add_f32_e32 v33, v7, v9
	v_mov_b32_e32 v7, 0
	v_mov_b32_e32 v9, 0
	v_mov_b32_e32 v8, 0
	ds_write_b64 v11, v[32:33]
	s_waitcnt lgkmcnt(0)
	s_barrier
	buffer_gl0_inv
	s_and_saveexec_b32 s12, s4
	s_cbranch_execz .LBB10_24
; %bb.21:                               ;   in Loop: Header=BB10_4 Depth=1
	ds_read_b64 v[8:9], v10
	ds_read_b64 v[32:33], v16
	s_waitcnt lgkmcnt(0)
	v_cmp_eq_u64_e32 vcc_lo, v[8:9], v[32:33]
	v_mov_b32_e32 v8, 0
	v_mov_b32_e32 v9, 0
	s_and_saveexec_b32 s13, vcc_lo
; %bb.22:                               ;   in Loop: Header=BB10_4 Depth=1
	ds_read_b64 v[8:9], v21
; %bb.23:                               ;   in Loop: Header=BB10_4 Depth=1
	s_or_b32 exec_lo, exec_lo, s13
.LBB10_24:                              ;   in Loop: Header=BB10_4 Depth=1
	s_or_b32 exec_lo, exec_lo, s12
	s_waitcnt lgkmcnt(0)
	s_barrier
	buffer_gl0_inv
	ds_read_b64 v[32:33], v11
	v_mov_b32_e32 v6, 0
	s_waitcnt lgkmcnt(0)
	v_add_f32_e32 v8, v8, v32
	v_add_f32_e32 v9, v9, v33
	ds_write_b64 v11, v[8:9]
	s_waitcnt lgkmcnt(0)
	s_barrier
	buffer_gl0_inv
	s_and_saveexec_b32 s12, s5
	s_cbranch_execz .LBB10_28
; %bb.25:                               ;   in Loop: Header=BB10_4 Depth=1
	ds_read_b64 v[6:7], v10
	ds_read_b64 v[8:9], v22
	s_waitcnt lgkmcnt(0)
	v_cmp_eq_u64_e32 vcc_lo, v[6:7], v[8:9]
	v_mov_b32_e32 v6, 0
	v_mov_b32_e32 v7, 0
	s_and_saveexec_b32 s13, vcc_lo
; %bb.26:                               ;   in Loop: Header=BB10_4 Depth=1
	ds_read_b64 v[6:7], v23
; %bb.27:                               ;   in Loop: Header=BB10_4 Depth=1
	s_or_b32 exec_lo, exec_lo, s13
.LBB10_28:                              ;   in Loop: Header=BB10_4 Depth=1
	;; [unrolled: 58-line block ×4, first 2 shown]
	s_or_b32 exec_lo, exec_lo, s12
	s_waitcnt lgkmcnt(0)
	s_barrier
	buffer_gl0_inv
	ds_read_b64 v[8:9], v11
	s_waitcnt lgkmcnt(0)
	v_add_f32_e32 v6, v6, v8
	v_add_f32_e32 v7, v7, v9
	v_mov_b32_e32 v8, -1
	v_mov_b32_e32 v9, -1
	ds_write_b64 v11, v[6:7]
	s_waitcnt lgkmcnt(0)
	s_barrier
	buffer_gl0_inv
	ds_read_b64 v[6:7], v10
	s_and_saveexec_b32 s12, s6
; %bb.45:                               ;   in Loop: Header=BB10_4 Depth=1
	ds_read_b64 v[8:9], v10 offset:8
; %bb.46:                               ;   in Loop: Header=BB10_4 Depth=1
	s_or_b32 exec_lo, exec_lo, s12
	s_waitcnt lgkmcnt(0)
	v_cmp_ne_u64_e32 vcc_lo, v[6:7], v[8:9]
	v_cmp_lt_i64_e64 s12, -1, v[6:7]
	s_and_b32 s13, s12, vcc_lo
	s_and_saveexec_b32 s12, s13
	s_cbranch_execz .LBB10_3
; %bb.47:                               ;   in Loop: Header=BB10_4 Depth=1
	s_and_b32 vcc_lo, exec_lo, s24
	s_mov_b32 s13, -1
                                        ; implicit-def: $vgpr32
                                        ; implicit-def: $vgpr8_vgpr9
	s_cbranch_vccz .LBB10_49
; %bb.48:                               ;   in Loop: Header=BB10_4 Depth=1
	v_mul_lo_u32 v32, v7, s18
	v_mul_lo_u32 v33, v6, s19
	v_mad_u64_u32 v[8:9], null, v6, s18, 0
	ds_read_b64 v[34:35], v11
	s_mov_b32 s13, 0
	v_add3_u32 v9, v9, v33, v32
	v_lshlrev_b64 v[8:9], 3, v[8:9]
	v_add_co_u32 v8, vcc_lo, s22, v8
	v_add_co_ci_u32_e64 v9, null, s23, v9, vcc_lo
	global_load_dwordx2 v[32:33], v[8:9], off
	s_waitcnt vmcnt(0) lgkmcnt(0)
	v_add_f32_e32 v34, v34, v32
	v_add_f32_e32 v32, v35, v33
	global_store_dword v[8:9], v34, off
.LBB10_49:                              ;   in Loop: Header=BB10_4 Depth=1
	s_andn2_b32 vcc_lo, exec_lo, s13
	s_cbranch_vccnz .LBB10_2
; %bb.50:                               ;   in Loop: Header=BB10_4 Depth=1
	v_lshlrev_b64 v[6:7], 3, v[6:7]
	ds_read_b64 v[32:33], v11
	v_add_co_u32 v8, vcc_lo, s16, v6
	v_add_co_ci_u32_e64 v9, null, s17, v7, vcc_lo
	global_load_dwordx2 v[6:7], v[8:9], off
	s_waitcnt vmcnt(0) lgkmcnt(0)
	v_add_f32_e32 v6, v32, v6
	v_add_f32_e32 v32, v33, v7
	global_store_dword v[8:9], v6, off
	s_branch .LBB10_2
.LBB10_51:
	s_endpgm
	.section	.rodata,"a",@progbits
	.p2align	6, 0x0
	.amdhsa_kernel _ZN9rocsparseL28csrmmnn_general_block_reduceILj1024Eli21rocsparse_complex_numIfES2_EEvT0_PKT1_PKT3_PT2_l16rocsparse_order_
		.amdhsa_group_segment_fixed_size 16384
		.amdhsa_private_segment_fixed_size 0
		.amdhsa_kernarg_size 44
		.amdhsa_user_sgpr_count 6
		.amdhsa_user_sgpr_private_segment_buffer 1
		.amdhsa_user_sgpr_dispatch_ptr 0
		.amdhsa_user_sgpr_queue_ptr 0
		.amdhsa_user_sgpr_kernarg_segment_ptr 1
		.amdhsa_user_sgpr_dispatch_id 0
		.amdhsa_user_sgpr_flat_scratch_init 0
		.amdhsa_user_sgpr_private_segment_size 0
		.amdhsa_wavefront_size32 1
		.amdhsa_uses_dynamic_stack 0
		.amdhsa_system_sgpr_private_segment_wavefront_offset 0
		.amdhsa_system_sgpr_workgroup_id_x 1
		.amdhsa_system_sgpr_workgroup_id_y 0
		.amdhsa_system_sgpr_workgroup_id_z 0
		.amdhsa_system_sgpr_workgroup_info 0
		.amdhsa_system_vgpr_workitem_id 0
		.amdhsa_next_free_vgpr 36
		.amdhsa_next_free_sgpr 28
		.amdhsa_reserve_vcc 1
		.amdhsa_reserve_flat_scratch 0
		.amdhsa_float_round_mode_32 0
		.amdhsa_float_round_mode_16_64 0
		.amdhsa_float_denorm_mode_32 3
		.amdhsa_float_denorm_mode_16_64 3
		.amdhsa_dx10_clamp 1
		.amdhsa_ieee_mode 1
		.amdhsa_fp16_overflow 0
		.amdhsa_workgroup_processor_mode 1
		.amdhsa_memory_ordered 1
		.amdhsa_forward_progress 1
		.amdhsa_shared_vgpr_count 0
		.amdhsa_exception_fp_ieee_invalid_op 0
		.amdhsa_exception_fp_denorm_src 0
		.amdhsa_exception_fp_ieee_div_zero 0
		.amdhsa_exception_fp_ieee_overflow 0
		.amdhsa_exception_fp_ieee_underflow 0
		.amdhsa_exception_fp_ieee_inexact 0
		.amdhsa_exception_int_div_zero 0
	.end_amdhsa_kernel
	.section	.text._ZN9rocsparseL28csrmmnn_general_block_reduceILj1024Eli21rocsparse_complex_numIfES2_EEvT0_PKT1_PKT3_PT2_l16rocsparse_order_,"axG",@progbits,_ZN9rocsparseL28csrmmnn_general_block_reduceILj1024Eli21rocsparse_complex_numIfES2_EEvT0_PKT1_PKT3_PT2_l16rocsparse_order_,comdat
.Lfunc_end10:
	.size	_ZN9rocsparseL28csrmmnn_general_block_reduceILj1024Eli21rocsparse_complex_numIfES2_EEvT0_PKT1_PKT3_PT2_l16rocsparse_order_, .Lfunc_end10-_ZN9rocsparseL28csrmmnn_general_block_reduceILj1024Eli21rocsparse_complex_numIfES2_EEvT0_PKT1_PKT3_PT2_l16rocsparse_order_
                                        ; -- End function
	.set _ZN9rocsparseL28csrmmnn_general_block_reduceILj1024Eli21rocsparse_complex_numIfES2_EEvT0_PKT1_PKT3_PT2_l16rocsparse_order_.num_vgpr, 36
	.set _ZN9rocsparseL28csrmmnn_general_block_reduceILj1024Eli21rocsparse_complex_numIfES2_EEvT0_PKT1_PKT3_PT2_l16rocsparse_order_.num_agpr, 0
	.set _ZN9rocsparseL28csrmmnn_general_block_reduceILj1024Eli21rocsparse_complex_numIfES2_EEvT0_PKT1_PKT3_PT2_l16rocsparse_order_.numbered_sgpr, 28
	.set _ZN9rocsparseL28csrmmnn_general_block_reduceILj1024Eli21rocsparse_complex_numIfES2_EEvT0_PKT1_PKT3_PT2_l16rocsparse_order_.num_named_barrier, 0
	.set _ZN9rocsparseL28csrmmnn_general_block_reduceILj1024Eli21rocsparse_complex_numIfES2_EEvT0_PKT1_PKT3_PT2_l16rocsparse_order_.private_seg_size, 0
	.set _ZN9rocsparseL28csrmmnn_general_block_reduceILj1024Eli21rocsparse_complex_numIfES2_EEvT0_PKT1_PKT3_PT2_l16rocsparse_order_.uses_vcc, 1
	.set _ZN9rocsparseL28csrmmnn_general_block_reduceILj1024Eli21rocsparse_complex_numIfES2_EEvT0_PKT1_PKT3_PT2_l16rocsparse_order_.uses_flat_scratch, 0
	.set _ZN9rocsparseL28csrmmnn_general_block_reduceILj1024Eli21rocsparse_complex_numIfES2_EEvT0_PKT1_PKT3_PT2_l16rocsparse_order_.has_dyn_sized_stack, 0
	.set _ZN9rocsparseL28csrmmnn_general_block_reduceILj1024Eli21rocsparse_complex_numIfES2_EEvT0_PKT1_PKT3_PT2_l16rocsparse_order_.has_recursion, 0
	.set _ZN9rocsparseL28csrmmnn_general_block_reduceILj1024Eli21rocsparse_complex_numIfES2_EEvT0_PKT1_PKT3_PT2_l16rocsparse_order_.has_indirect_call, 0
	.section	.AMDGPU.csdata,"",@progbits
; Kernel info:
; codeLenInByte = 2144
; TotalNumSgprs: 30
; NumVgprs: 36
; ScratchSize: 0
; MemoryBound: 0
; FloatMode: 240
; IeeeMode: 1
; LDSByteSize: 16384 bytes/workgroup (compile time only)
; SGPRBlocks: 0
; VGPRBlocks: 4
; NumSGPRsForWavesPerEU: 30
; NumVGPRsForWavesPerEU: 36
; Occupancy: 16
; WaveLimiterHint : 0
; COMPUTE_PGM_RSRC2:SCRATCH_EN: 0
; COMPUTE_PGM_RSRC2:USER_SGPR: 6
; COMPUTE_PGM_RSRC2:TRAP_HANDLER: 0
; COMPUTE_PGM_RSRC2:TGID_X_EN: 1
; COMPUTE_PGM_RSRC2:TGID_Y_EN: 0
; COMPUTE_PGM_RSRC2:TGID_Z_EN: 0
; COMPUTE_PGM_RSRC2:TIDIG_COMP_CNT: 0
	.section	.text._ZN9rocsparseL28csrmmnn_general_block_reduceILj1024Ell21rocsparse_complex_numIfES2_EEvT0_PKT1_PKT3_PT2_l16rocsparse_order_,"axG",@progbits,_ZN9rocsparseL28csrmmnn_general_block_reduceILj1024Ell21rocsparse_complex_numIfES2_EEvT0_PKT1_PKT3_PT2_l16rocsparse_order_,comdat
	.globl	_ZN9rocsparseL28csrmmnn_general_block_reduceILj1024Ell21rocsparse_complex_numIfES2_EEvT0_PKT1_PKT3_PT2_l16rocsparse_order_ ; -- Begin function _ZN9rocsparseL28csrmmnn_general_block_reduceILj1024Ell21rocsparse_complex_numIfES2_EEvT0_PKT1_PKT3_PT2_l16rocsparse_order_
	.p2align	8
	.type	_ZN9rocsparseL28csrmmnn_general_block_reduceILj1024Ell21rocsparse_complex_numIfES2_EEvT0_PKT1_PKT3_PT2_l16rocsparse_order_,@function
_ZN9rocsparseL28csrmmnn_general_block_reduceILj1024Ell21rocsparse_complex_numIfES2_EEvT0_PKT1_PKT3_PT2_l16rocsparse_order_: ; @_ZN9rocsparseL28csrmmnn_general_block_reduceILj1024Ell21rocsparse_complex_numIfES2_EEvT0_PKT1_PKT3_PT2_l16rocsparse_order_
; %bb.0:
	s_load_dwordx2 s[20:21], s[4:5], 0x0
	v_mov_b32_e32 v2, -1
	v_mov_b32_e32 v1, 0
	v_lshlrev_b32_e32 v10, 3, v0
	s_mov_b32 s7, 0
	s_mov_b32 s0, exec_lo
	v_mov_b32_e32 v3, v2
	v_mov_b32_e32 v4, v1
	;; [unrolled: 1-line block ×3, first 2 shown]
	ds_write2st64_b64 v10, v[2:3], v[4:5] offset1:16
	s_waitcnt lgkmcnt(0)
	s_barrier
	buffer_gl0_inv
	v_cmpx_gt_i64_e64 s[20:21], v[0:1]
	s_cbranch_execz .LBB11_51
; %bb.1:
	s_clause 0x1
	s_load_dwordx8 s[12:19], s[4:5], 0x8
	s_load_dword s11, s[4:5], 0x28
	s_lshl_b64 s[8:9], s[6:7], 3
	v_lshlrev_b32_e32 v4, 3, v0
	v_or_b32_e32 v11, 0x2000, v10
	v_cmp_ne_u32_e64 s0, 0, v0
	v_add_nc_u32_e32 v12, -8, v10
	v_cmp_lt_u32_e64 s1, 1, v0
	v_add_nc_u32_e32 v13, -16, v10
	v_cmp_lt_u32_e64 s2, 3, v0
	v_subrev_nc_u32_e32 v14, 32, v10
	v_cmp_lt_u32_e64 s3, 7, v0
	v_subrev_nc_u32_e32 v15, 64, v10
	v_cmp_lt_u32_e64 s4, 15, v0
	v_add_nc_u32_e32 v16, 0xffffff80, v10
	v_cmp_lt_u32_e64 s5, 31, v0
	v_add_nc_u32_e32 v17, -8, v11
	v_add_nc_u32_e32 v18, -16, v11
	v_subrev_nc_u32_e32 v19, 32, v11
	v_subrev_nc_u32_e32 v20, 64, v11
	s_waitcnt lgkmcnt(0)
	s_add_u32 s22, s16, s8
	s_addc_u32 s23, s17, s9
	s_cmp_lg_u32 s11, 1
	s_mul_i32 s11, s19, s6
	s_mul_hi_u32 s25, s18, s6
	s_cselect_b32 s24, -1, 0
	s_add_i32 s27, s25, s11
	s_mul_i32 s26, s18, s6
	s_mul_i32 s25, s21, s6
	s_lshl_b64 s[26:27], s[26:27], 3
	v_add_nc_u32_e32 v21, 0xffffff80, v11
	s_add_u32 s16, s16, s26
	s_mul_hi_u32 s26, s20, s6
	s_addc_u32 s17, s17, s27
	s_add_i32 s27, s26, s25
	s_mul_i32 s26, s20, s6
	v_add_nc_u32_e32 v22, 0xffffff00, v10
	s_lshl_b64 s[26:27], s[26:27], 3
	v_add_nc_u32_e32 v23, 0xffffff00, v11
	s_add_u32 s14, s14, s26
	s_addc_u32 s15, s15, s27
	v_add_co_u32 v2, s14, s14, v4
	v_add_co_u32 v4, s12, s12, v4
	v_cmp_lt_u32_e64 s8, 63, v0
	v_add_nc_u32_e32 v24, 0xfffffe00, v10
	v_add_nc_u32_e32 v25, 0xfffffe00, v11
	v_cmp_lt_u32_e64 s9, 0x7f, v0
	v_add_nc_u32_e32 v26, 0xfffffc00, v10
	v_add_nc_u32_e32 v27, 0xfffffc00, v11
	;; [unrolled: 3-line block ×4, first 2 shown]
	v_cmp_ne_u32_e64 s6, 0x3ff, v0
	v_add_co_ci_u32_e64 v3, null, s15, 0, s14
	v_add_co_ci_u32_e64 v5, null, s13, 0, s12
	s_branch .LBB11_4
.LBB11_2:                               ;   in Loop: Header=BB11_4 Depth=1
	global_store_dword v[8:9], v32, off offset:4
.LBB11_3:                               ;   in Loop: Header=BB11_4 Depth=1
	s_or_b32 exec_lo, exec_lo, s12
	v_add_co_u32 v0, vcc_lo, 0x400, v0
	v_add_co_ci_u32_e64 v1, null, 0, v1, vcc_lo
	v_add_co_u32 v2, vcc_lo, 0x2000, v2
	v_add_co_ci_u32_e64 v3, null, 0, v3, vcc_lo
	v_cmp_le_i64_e32 vcc_lo, s[20:21], v[0:1]
	v_add_co_u32 v4, s12, 0x2000, v4
	v_add_co_ci_u32_e64 v5, null, 0, v5, s12
	s_waitcnt_vscnt null, 0x0
	s_or_b32 s7, vcc_lo, s7
	s_barrier
	buffer_gl0_inv
	s_andn2_b32 exec_lo, exec_lo, s7
	s_cbranch_execz .LBB11_51
.LBB11_4:                               ; =>This Inner Loop Header: Depth=1
	global_load_dwordx2 v[32:33], v[4:5], off
	global_load_dwordx2 v[34:35], v[2:3], off
	v_mov_b32_e32 v7, 0
	v_mov_b32_e32 v9, 0
	;; [unrolled: 1-line block ×3, first 2 shown]
	s_waitcnt vmcnt(1)
	ds_write_b64 v10, v[32:33]
	s_waitcnt vmcnt(0)
	ds_write_b64 v11, v[34:35]
	s_waitcnt lgkmcnt(0)
	s_barrier
	buffer_gl0_inv
	s_and_saveexec_b32 s12, s0
	s_cbranch_execz .LBB11_8
; %bb.5:                                ;   in Loop: Header=BB11_4 Depth=1
	ds_read2_b64 v[32:35], v12 offset1:1
	v_mov_b32_e32 v8, 0
	v_mov_b32_e32 v9, 0
	s_mov_b32 s13, exec_lo
	s_waitcnt lgkmcnt(0)
	v_cmpx_eq_u64_e64 v[34:35], v[32:33]
; %bb.6:                                ;   in Loop: Header=BB11_4 Depth=1
	ds_read_b64 v[8:9], v17
; %bb.7:                                ;   in Loop: Header=BB11_4 Depth=1
	s_or_b32 exec_lo, exec_lo, s13
.LBB11_8:                               ;   in Loop: Header=BB11_4 Depth=1
	s_or_b32 exec_lo, exec_lo, s12
	s_waitcnt lgkmcnt(0)
	s_barrier
	buffer_gl0_inv
	ds_read_b64 v[32:33], v11
	v_mov_b32_e32 v6, 0
	s_waitcnt lgkmcnt(0)
	v_add_f32_e32 v8, v8, v32
	v_add_f32_e32 v9, v9, v33
	ds_write_b64 v11, v[8:9]
	s_waitcnt lgkmcnt(0)
	s_barrier
	buffer_gl0_inv
	s_and_saveexec_b32 s12, s1
	s_cbranch_execz .LBB11_12
; %bb.9:                                ;   in Loop: Header=BB11_4 Depth=1
	ds_read_b64 v[6:7], v10
	ds_read_b64 v[8:9], v13
	s_waitcnt lgkmcnt(0)
	v_cmp_eq_u64_e32 vcc_lo, v[6:7], v[8:9]
	v_mov_b32_e32 v6, 0
	v_mov_b32_e32 v7, 0
	s_and_saveexec_b32 s13, vcc_lo
; %bb.10:                               ;   in Loop: Header=BB11_4 Depth=1
	ds_read_b64 v[6:7], v18
; %bb.11:                               ;   in Loop: Header=BB11_4 Depth=1
	s_or_b32 exec_lo, exec_lo, s13
.LBB11_12:                              ;   in Loop: Header=BB11_4 Depth=1
	s_or_b32 exec_lo, exec_lo, s12
	s_waitcnt lgkmcnt(0)
	s_barrier
	buffer_gl0_inv
	ds_read_b64 v[8:9], v11
	s_waitcnt lgkmcnt(0)
	v_add_f32_e32 v32, v6, v8
	v_add_f32_e32 v33, v7, v9
	v_mov_b32_e32 v7, 0
	v_mov_b32_e32 v9, 0
	v_mov_b32_e32 v8, 0
	ds_write_b64 v11, v[32:33]
	s_waitcnt lgkmcnt(0)
	s_barrier
	buffer_gl0_inv
	s_and_saveexec_b32 s12, s2
	s_cbranch_execz .LBB11_16
; %bb.13:                               ;   in Loop: Header=BB11_4 Depth=1
	ds_read_b64 v[8:9], v10
	ds_read_b64 v[32:33], v14
	s_waitcnt lgkmcnt(0)
	v_cmp_eq_u64_e32 vcc_lo, v[8:9], v[32:33]
	v_mov_b32_e32 v8, 0
	v_mov_b32_e32 v9, 0
	s_and_saveexec_b32 s13, vcc_lo
; %bb.14:                               ;   in Loop: Header=BB11_4 Depth=1
	ds_read_b64 v[8:9], v19
; %bb.15:                               ;   in Loop: Header=BB11_4 Depth=1
	s_or_b32 exec_lo, exec_lo, s13
.LBB11_16:                              ;   in Loop: Header=BB11_4 Depth=1
	s_or_b32 exec_lo, exec_lo, s12
	s_waitcnt lgkmcnt(0)
	s_barrier
	buffer_gl0_inv
	ds_read_b64 v[32:33], v11
	v_mov_b32_e32 v6, 0
	s_waitcnt lgkmcnt(0)
	v_add_f32_e32 v8, v8, v32
	v_add_f32_e32 v9, v9, v33
	ds_write_b64 v11, v[8:9]
	s_waitcnt lgkmcnt(0)
	s_barrier
	buffer_gl0_inv
	s_and_saveexec_b32 s12, s3
	s_cbranch_execz .LBB11_20
; %bb.17:                               ;   in Loop: Header=BB11_4 Depth=1
	ds_read_b64 v[6:7], v10
	ds_read_b64 v[8:9], v15
	s_waitcnt lgkmcnt(0)
	v_cmp_eq_u64_e32 vcc_lo, v[6:7], v[8:9]
	v_mov_b32_e32 v6, 0
	v_mov_b32_e32 v7, 0
	s_and_saveexec_b32 s13, vcc_lo
; %bb.18:                               ;   in Loop: Header=BB11_4 Depth=1
	ds_read_b64 v[6:7], v20
; %bb.19:                               ;   in Loop: Header=BB11_4 Depth=1
	s_or_b32 exec_lo, exec_lo, s13
.LBB11_20:                              ;   in Loop: Header=BB11_4 Depth=1
	s_or_b32 exec_lo, exec_lo, s12
	s_waitcnt lgkmcnt(0)
	s_barrier
	buffer_gl0_inv
	ds_read_b64 v[8:9], v11
	s_waitcnt lgkmcnt(0)
	v_add_f32_e32 v32, v6, v8
	v_add_f32_e32 v33, v7, v9
	v_mov_b32_e32 v7, 0
	v_mov_b32_e32 v9, 0
	v_mov_b32_e32 v8, 0
	ds_write_b64 v11, v[32:33]
	s_waitcnt lgkmcnt(0)
	s_barrier
	buffer_gl0_inv
	s_and_saveexec_b32 s12, s4
	s_cbranch_execz .LBB11_24
; %bb.21:                               ;   in Loop: Header=BB11_4 Depth=1
	ds_read_b64 v[8:9], v10
	ds_read_b64 v[32:33], v16
	s_waitcnt lgkmcnt(0)
	v_cmp_eq_u64_e32 vcc_lo, v[8:9], v[32:33]
	v_mov_b32_e32 v8, 0
	v_mov_b32_e32 v9, 0
	s_and_saveexec_b32 s13, vcc_lo
; %bb.22:                               ;   in Loop: Header=BB11_4 Depth=1
	ds_read_b64 v[8:9], v21
; %bb.23:                               ;   in Loop: Header=BB11_4 Depth=1
	s_or_b32 exec_lo, exec_lo, s13
.LBB11_24:                              ;   in Loop: Header=BB11_4 Depth=1
	s_or_b32 exec_lo, exec_lo, s12
	s_waitcnt lgkmcnt(0)
	s_barrier
	buffer_gl0_inv
	ds_read_b64 v[32:33], v11
	v_mov_b32_e32 v6, 0
	s_waitcnt lgkmcnt(0)
	v_add_f32_e32 v8, v8, v32
	v_add_f32_e32 v9, v9, v33
	ds_write_b64 v11, v[8:9]
	s_waitcnt lgkmcnt(0)
	s_barrier
	buffer_gl0_inv
	s_and_saveexec_b32 s12, s5
	s_cbranch_execz .LBB11_28
; %bb.25:                               ;   in Loop: Header=BB11_4 Depth=1
	ds_read_b64 v[6:7], v10
	ds_read_b64 v[8:9], v22
	s_waitcnt lgkmcnt(0)
	v_cmp_eq_u64_e32 vcc_lo, v[6:7], v[8:9]
	v_mov_b32_e32 v6, 0
	v_mov_b32_e32 v7, 0
	s_and_saveexec_b32 s13, vcc_lo
; %bb.26:                               ;   in Loop: Header=BB11_4 Depth=1
	ds_read_b64 v[6:7], v23
; %bb.27:                               ;   in Loop: Header=BB11_4 Depth=1
	s_or_b32 exec_lo, exec_lo, s13
.LBB11_28:                              ;   in Loop: Header=BB11_4 Depth=1
	;; [unrolled: 58-line block ×4, first 2 shown]
	s_or_b32 exec_lo, exec_lo, s12
	s_waitcnt lgkmcnt(0)
	s_barrier
	buffer_gl0_inv
	ds_read_b64 v[8:9], v11
	s_waitcnt lgkmcnt(0)
	v_add_f32_e32 v6, v6, v8
	v_add_f32_e32 v7, v7, v9
	v_mov_b32_e32 v8, -1
	v_mov_b32_e32 v9, -1
	ds_write_b64 v11, v[6:7]
	s_waitcnt lgkmcnt(0)
	s_barrier
	buffer_gl0_inv
	ds_read_b64 v[6:7], v10
	s_and_saveexec_b32 s12, s6
; %bb.45:                               ;   in Loop: Header=BB11_4 Depth=1
	ds_read_b64 v[8:9], v10 offset:8
; %bb.46:                               ;   in Loop: Header=BB11_4 Depth=1
	s_or_b32 exec_lo, exec_lo, s12
	s_waitcnt lgkmcnt(0)
	v_cmp_ne_u64_e32 vcc_lo, v[6:7], v[8:9]
	v_cmp_lt_i64_e64 s12, -1, v[6:7]
	s_and_b32 s13, s12, vcc_lo
	s_and_saveexec_b32 s12, s13
	s_cbranch_execz .LBB11_3
; %bb.47:                               ;   in Loop: Header=BB11_4 Depth=1
	s_and_b32 vcc_lo, exec_lo, s24
	s_mov_b32 s13, -1
                                        ; implicit-def: $vgpr32
                                        ; implicit-def: $vgpr8_vgpr9
	s_cbranch_vccz .LBB11_49
; %bb.48:                               ;   in Loop: Header=BB11_4 Depth=1
	v_mul_lo_u32 v32, v7, s18
	v_mul_lo_u32 v33, v6, s19
	v_mad_u64_u32 v[8:9], null, v6, s18, 0
	ds_read_b64 v[34:35], v11
	s_mov_b32 s13, 0
	v_add3_u32 v9, v9, v33, v32
	v_lshlrev_b64 v[8:9], 3, v[8:9]
	v_add_co_u32 v8, vcc_lo, s22, v8
	v_add_co_ci_u32_e64 v9, null, s23, v9, vcc_lo
	global_load_dwordx2 v[32:33], v[8:9], off
	s_waitcnt vmcnt(0) lgkmcnt(0)
	v_add_f32_e32 v34, v34, v32
	v_add_f32_e32 v32, v35, v33
	global_store_dword v[8:9], v34, off
.LBB11_49:                              ;   in Loop: Header=BB11_4 Depth=1
	s_andn2_b32 vcc_lo, exec_lo, s13
	s_cbranch_vccnz .LBB11_2
; %bb.50:                               ;   in Loop: Header=BB11_4 Depth=1
	v_lshlrev_b64 v[6:7], 3, v[6:7]
	ds_read_b64 v[32:33], v11
	v_add_co_u32 v8, vcc_lo, s16, v6
	v_add_co_ci_u32_e64 v9, null, s17, v7, vcc_lo
	global_load_dwordx2 v[6:7], v[8:9], off
	s_waitcnt vmcnt(0) lgkmcnt(0)
	v_add_f32_e32 v6, v32, v6
	v_add_f32_e32 v32, v33, v7
	global_store_dword v[8:9], v6, off
	s_branch .LBB11_2
.LBB11_51:
	s_endpgm
	.section	.rodata,"a",@progbits
	.p2align	6, 0x0
	.amdhsa_kernel _ZN9rocsparseL28csrmmnn_general_block_reduceILj1024Ell21rocsparse_complex_numIfES2_EEvT0_PKT1_PKT3_PT2_l16rocsparse_order_
		.amdhsa_group_segment_fixed_size 16384
		.amdhsa_private_segment_fixed_size 0
		.amdhsa_kernarg_size 44
		.amdhsa_user_sgpr_count 6
		.amdhsa_user_sgpr_private_segment_buffer 1
		.amdhsa_user_sgpr_dispatch_ptr 0
		.amdhsa_user_sgpr_queue_ptr 0
		.amdhsa_user_sgpr_kernarg_segment_ptr 1
		.amdhsa_user_sgpr_dispatch_id 0
		.amdhsa_user_sgpr_flat_scratch_init 0
		.amdhsa_user_sgpr_private_segment_size 0
		.amdhsa_wavefront_size32 1
		.amdhsa_uses_dynamic_stack 0
		.amdhsa_system_sgpr_private_segment_wavefront_offset 0
		.amdhsa_system_sgpr_workgroup_id_x 1
		.amdhsa_system_sgpr_workgroup_id_y 0
		.amdhsa_system_sgpr_workgroup_id_z 0
		.amdhsa_system_sgpr_workgroup_info 0
		.amdhsa_system_vgpr_workitem_id 0
		.amdhsa_next_free_vgpr 36
		.amdhsa_next_free_sgpr 28
		.amdhsa_reserve_vcc 1
		.amdhsa_reserve_flat_scratch 0
		.amdhsa_float_round_mode_32 0
		.amdhsa_float_round_mode_16_64 0
		.amdhsa_float_denorm_mode_32 3
		.amdhsa_float_denorm_mode_16_64 3
		.amdhsa_dx10_clamp 1
		.amdhsa_ieee_mode 1
		.amdhsa_fp16_overflow 0
		.amdhsa_workgroup_processor_mode 1
		.amdhsa_memory_ordered 1
		.amdhsa_forward_progress 1
		.amdhsa_shared_vgpr_count 0
		.amdhsa_exception_fp_ieee_invalid_op 0
		.amdhsa_exception_fp_denorm_src 0
		.amdhsa_exception_fp_ieee_div_zero 0
		.amdhsa_exception_fp_ieee_overflow 0
		.amdhsa_exception_fp_ieee_underflow 0
		.amdhsa_exception_fp_ieee_inexact 0
		.amdhsa_exception_int_div_zero 0
	.end_amdhsa_kernel
	.section	.text._ZN9rocsparseL28csrmmnn_general_block_reduceILj1024Ell21rocsparse_complex_numIfES2_EEvT0_PKT1_PKT3_PT2_l16rocsparse_order_,"axG",@progbits,_ZN9rocsparseL28csrmmnn_general_block_reduceILj1024Ell21rocsparse_complex_numIfES2_EEvT0_PKT1_PKT3_PT2_l16rocsparse_order_,comdat
.Lfunc_end11:
	.size	_ZN9rocsparseL28csrmmnn_general_block_reduceILj1024Ell21rocsparse_complex_numIfES2_EEvT0_PKT1_PKT3_PT2_l16rocsparse_order_, .Lfunc_end11-_ZN9rocsparseL28csrmmnn_general_block_reduceILj1024Ell21rocsparse_complex_numIfES2_EEvT0_PKT1_PKT3_PT2_l16rocsparse_order_
                                        ; -- End function
	.set _ZN9rocsparseL28csrmmnn_general_block_reduceILj1024Ell21rocsparse_complex_numIfES2_EEvT0_PKT1_PKT3_PT2_l16rocsparse_order_.num_vgpr, 36
	.set _ZN9rocsparseL28csrmmnn_general_block_reduceILj1024Ell21rocsparse_complex_numIfES2_EEvT0_PKT1_PKT3_PT2_l16rocsparse_order_.num_agpr, 0
	.set _ZN9rocsparseL28csrmmnn_general_block_reduceILj1024Ell21rocsparse_complex_numIfES2_EEvT0_PKT1_PKT3_PT2_l16rocsparse_order_.numbered_sgpr, 28
	.set _ZN9rocsparseL28csrmmnn_general_block_reduceILj1024Ell21rocsparse_complex_numIfES2_EEvT0_PKT1_PKT3_PT2_l16rocsparse_order_.num_named_barrier, 0
	.set _ZN9rocsparseL28csrmmnn_general_block_reduceILj1024Ell21rocsparse_complex_numIfES2_EEvT0_PKT1_PKT3_PT2_l16rocsparse_order_.private_seg_size, 0
	.set _ZN9rocsparseL28csrmmnn_general_block_reduceILj1024Ell21rocsparse_complex_numIfES2_EEvT0_PKT1_PKT3_PT2_l16rocsparse_order_.uses_vcc, 1
	.set _ZN9rocsparseL28csrmmnn_general_block_reduceILj1024Ell21rocsparse_complex_numIfES2_EEvT0_PKT1_PKT3_PT2_l16rocsparse_order_.uses_flat_scratch, 0
	.set _ZN9rocsparseL28csrmmnn_general_block_reduceILj1024Ell21rocsparse_complex_numIfES2_EEvT0_PKT1_PKT3_PT2_l16rocsparse_order_.has_dyn_sized_stack, 0
	.set _ZN9rocsparseL28csrmmnn_general_block_reduceILj1024Ell21rocsparse_complex_numIfES2_EEvT0_PKT1_PKT3_PT2_l16rocsparse_order_.has_recursion, 0
	.set _ZN9rocsparseL28csrmmnn_general_block_reduceILj1024Ell21rocsparse_complex_numIfES2_EEvT0_PKT1_PKT3_PT2_l16rocsparse_order_.has_indirect_call, 0
	.section	.AMDGPU.csdata,"",@progbits
; Kernel info:
; codeLenInByte = 2136
; TotalNumSgprs: 30
; NumVgprs: 36
; ScratchSize: 0
; MemoryBound: 0
; FloatMode: 240
; IeeeMode: 1
; LDSByteSize: 16384 bytes/workgroup (compile time only)
; SGPRBlocks: 0
; VGPRBlocks: 4
; NumSGPRsForWavesPerEU: 30
; NumVGPRsForWavesPerEU: 36
; Occupancy: 16
; WaveLimiterHint : 0
; COMPUTE_PGM_RSRC2:SCRATCH_EN: 0
; COMPUTE_PGM_RSRC2:USER_SGPR: 6
; COMPUTE_PGM_RSRC2:TRAP_HANDLER: 0
; COMPUTE_PGM_RSRC2:TGID_X_EN: 1
; COMPUTE_PGM_RSRC2:TGID_Y_EN: 0
; COMPUTE_PGM_RSRC2:TGID_Z_EN: 0
; COMPUTE_PGM_RSRC2:TIDIG_COMP_CNT: 0
	.section	.text._ZN9rocsparseL28csrmmnn_general_block_reduceILj1024Eii21rocsparse_complex_numIdES2_EEvT0_PKT1_PKT3_PT2_l16rocsparse_order_,"axG",@progbits,_ZN9rocsparseL28csrmmnn_general_block_reduceILj1024Eii21rocsparse_complex_numIdES2_EEvT0_PKT1_PKT3_PT2_l16rocsparse_order_,comdat
	.globl	_ZN9rocsparseL28csrmmnn_general_block_reduceILj1024Eii21rocsparse_complex_numIdES2_EEvT0_PKT1_PKT3_PT2_l16rocsparse_order_ ; -- Begin function _ZN9rocsparseL28csrmmnn_general_block_reduceILj1024Eii21rocsparse_complex_numIdES2_EEvT0_PKT1_PKT3_PT2_l16rocsparse_order_
	.p2align	8
	.type	_ZN9rocsparseL28csrmmnn_general_block_reduceILj1024Eii21rocsparse_complex_numIdES2_EEvT0_PKT1_PKT3_PT2_l16rocsparse_order_,@function
_ZN9rocsparseL28csrmmnn_general_block_reduceILj1024Eii21rocsparse_complex_numIdES2_EEvT0_PKT1_PKT3_PT2_l16rocsparse_order_: ; @_ZN9rocsparseL28csrmmnn_general_block_reduceILj1024Eii21rocsparse_complex_numIdES2_EEvT0_PKT1_PKT3_PT2_l16rocsparse_order_
; %bb.0:
	s_load_dword s20, s[4:5], 0x0
	v_mov_b32_e32 v2, 0
	v_lshlrev_b32_e32 v5, 2, v0
	v_mov_b32_e32 v6, -1
	v_lshlrev_b32_e32 v11, 4, v0
	s_mov_b32 s21, 0
	v_mov_b32_e32 v1, v2
	v_mov_b32_e32 v3, v2
	;; [unrolled: 1-line block ×3, first 2 shown]
	ds_write_b32 v5, v6 offset:16384
	s_mov_b32 s0, exec_lo
	ds_write_b128 v11, v[1:4]
	s_waitcnt lgkmcnt(0)
	s_barrier
	buffer_gl0_inv
	v_cmpx_gt_i32_e64 s20, v0
	s_cbranch_execz .LBB12_50
; %bb.1:
	s_clause 0x1
	s_load_dwordx8 s[12:19], s[4:5], 0x8
	s_load_dword s7, s[4:5], 0x28
	v_or_b32_e32 v12, 0x4000, v5
	v_cmp_ne_u32_e64 s0, 0, v0
	v_add_nc_u32_e32 v13, -16, v11
	v_cmp_lt_u32_e64 s1, 1, v0
	v_subrev_nc_u32_e32 v16, 32, v11
	v_add_nc_u32_e32 v14, -4, v12
	v_add_nc_u32_e32 v15, -8, v12
	v_cmp_lt_u32_e64 s2, 3, v0
	v_add_nc_u32_e32 v17, -16, v12
	v_subrev_nc_u32_e32 v18, 64, v11
	v_cmp_lt_u32_e64 s3, 7, v0
	v_subrev_nc_u32_e32 v19, 32, v12
	v_add_nc_u32_e32 v20, 0xffffff80, v11
	v_cmp_lt_u32_e64 s4, 15, v0
	v_subrev_nc_u32_e32 v21, 64, v12
	v_add_nc_u32_e32 v22, 0xffffff00, v11
	v_cmp_lt_u32_e64 s5, 31, v0
	v_add_nc_u32_e32 v23, 0xffffff80, v12
	s_waitcnt lgkmcnt(0)
	s_mul_hi_u32 s26, s18, s6
	s_cmp_lg_u32 s7, 1
	v_add_nc_u32_e32 v24, 0xfffffe00, v11
	s_cselect_b32 s22, -1, 0
	s_ashr_i32 s7, s6, 31
	v_cmp_lt_u32_e64 s8, 63, v0
	s_lshl_b64 s[24:25], s[6:7], 4
	s_mul_i32 s7, s18, s7
	s_add_u32 s23, s16, s24
	s_addc_u32 s24, s17, s25
	s_add_i32 s7, s26, s7
	s_mul_i32 s25, s19, s6
	s_mul_i32 s26, s18, s6
	s_add_i32 s27, s7, s25
	v_add_nc_u32_e32 v25, 0xffffff00, v12
	v_add_nc_u32_e32 v26, 0xfffffc00, v11
	v_cmp_lt_u32_e64 s9, 0x7f, v0
	v_add_nc_u32_e32 v27, 0xfffffe00, v12
	v_add_nc_u32_e32 v28, 0xfffff800, v11
	v_cmp_lt_u32_e64 s10, 0xff, v0
	;; [unrolled: 3-line block ×3, first 2 shown]
	v_add_nc_u32_e32 v31, 0xfffff800, v12
	v_add_nc_u32_e32 v32, 0xffffe000, v11
	v_cmp_ne_u32_e64 s7, 0x3ff, v0
	s_lshl_b64 s[26:27], s[26:27], 4
	s_mul_i32 s25, s20, s6
	s_add_u32 s16, s16, s26
	s_addc_u32 s17, s17, s27
	s_branch .LBB12_3
.LBB12_2:                               ;   in Loop: Header=BB12_3 Depth=1
	s_or_b32 exec_lo, exec_lo, s6
	v_add_nc_u32_e32 v0, 0x400, v0
	s_waitcnt_vscnt null, 0x0
	s_barrier
	buffer_gl0_inv
	v_cmp_le_i32_e32 vcc_lo, s20, v0
	s_or_b32 s21, vcc_lo, s21
	s_andn2_b32 exec_lo, exec_lo, s21
	s_cbranch_execz .LBB12_50
.LBB12_3:                               ; =>This Inner Loop Header: Depth=1
	v_add_nc_u32_e32 v3, s25, v0
	v_ashrrev_i32_e32 v1, 31, v0
	v_mov_b32_e32 v9, 0
	v_mov_b32_e32 v7, 0
	;; [unrolled: 1-line block ×3, first 2 shown]
	v_ashrrev_i32_e32 v4, 31, v3
	v_lshlrev_b64 v[5:6], 2, v[0:1]
	v_mov_b32_e32 v8, 0
	v_lshlrev_b64 v[3:4], 4, v[3:4]
	v_add_co_u32 v5, vcc_lo, s12, v5
	v_add_co_ci_u32_e64 v6, null, s13, v6, vcc_lo
	v_add_co_u32 v3, vcc_lo, s14, v3
	v_add_co_ci_u32_e64 v4, null, s15, v4, vcc_lo
	global_load_dword v1, v[5:6], off
	global_load_dwordx4 v[33:36], v[3:4], off
	v_mov_b32_e32 v5, 0
	v_mov_b32_e32 v6, 0
	s_waitcnt vmcnt(1)
	ds_write_b32 v12, v1
	s_waitcnt vmcnt(0)
	ds_write2_b64 v11, v[33:34], v[35:36] offset1:1
	s_waitcnt lgkmcnt(0)
	s_barrier
	buffer_gl0_inv
	s_and_saveexec_b32 s6, s0
	s_cbranch_execz .LBB12_7
; %bb.4:                                ;   in Loop: Header=BB12_3 Depth=1
	ds_read2_b32 v[3:4], v14 offset1:1
	v_mov_b32_e32 v7, 0
	v_mov_b32_e32 v9, 0
	;; [unrolled: 1-line block ×4, first 2 shown]
	s_mov_b32 s26, exec_lo
	s_waitcnt lgkmcnt(0)
	v_cmpx_eq_u32_e64 v4, v3
; %bb.5:                                ;   in Loop: Header=BB12_3 Depth=1
	ds_read_b128 v[7:10], v13
; %bb.6:                                ;   in Loop: Header=BB12_3 Depth=1
	s_or_b32 exec_lo, exec_lo, s26
.LBB12_7:                               ;   in Loop: Header=BB12_3 Depth=1
	s_or_b32 exec_lo, exec_lo, s6
	s_waitcnt lgkmcnt(0)
	s_barrier
	buffer_gl0_inv
	ds_read_b128 v[33:36], v11
	v_mov_b32_e32 v3, 0
	v_mov_b32_e32 v4, 0
	s_waitcnt lgkmcnt(0)
	v_add_f64 v[7:8], v[7:8], v[33:34]
	v_add_f64 v[9:10], v[9:10], v[35:36]
	ds_write_b128 v11, v[7:10]
	s_waitcnt lgkmcnt(0)
	s_barrier
	buffer_gl0_inv
	s_and_saveexec_b32 s6, s1
	s_cbranch_execz .LBB12_11
; %bb.8:                                ;   in Loop: Header=BB12_3 Depth=1
	ds_read_b32 v1, v12
	ds_read_b32 v7, v15
	v_mov_b32_e32 v3, 0
	v_mov_b32_e32 v5, 0
	;; [unrolled: 1-line block ×4, first 2 shown]
	s_mov_b32 s26, exec_lo
	s_waitcnt lgkmcnt(0)
	v_cmpx_eq_u32_e64 v1, v7
; %bb.9:                                ;   in Loop: Header=BB12_3 Depth=1
	ds_read_b128 v[3:6], v16
; %bb.10:                               ;   in Loop: Header=BB12_3 Depth=1
	s_or_b32 exec_lo, exec_lo, s26
.LBB12_11:                              ;   in Loop: Header=BB12_3 Depth=1
	s_or_b32 exec_lo, exec_lo, s6
	s_waitcnt lgkmcnt(0)
	s_barrier
	buffer_gl0_inv
	ds_read_b128 v[7:10], v11
	s_waitcnt lgkmcnt(0)
	v_add_f64 v[33:34], v[3:4], v[7:8]
	v_add_f64 v[35:36], v[5:6], v[9:10]
	v_mov_b32_e32 v5, 0
	v_mov_b32_e32 v9, 0
	;; [unrolled: 1-line block ×6, first 2 shown]
	ds_write_b128 v11, v[33:36]
	s_waitcnt lgkmcnt(0)
	s_barrier
	buffer_gl0_inv
	s_and_saveexec_b32 s6, s2
	s_cbranch_execz .LBB12_15
; %bb.12:                               ;   in Loop: Header=BB12_3 Depth=1
	ds_read_b32 v1, v12
	ds_read_b32 v3, v17
	v_mov_b32_e32 v7, 0
	v_mov_b32_e32 v9, 0
	v_mov_b32_e32 v8, 0
	v_mov_b32_e32 v10, 0
	s_mov_b32 s26, exec_lo
	s_waitcnt lgkmcnt(0)
	v_cmpx_eq_u32_e64 v1, v3
; %bb.13:                               ;   in Loop: Header=BB12_3 Depth=1
	ds_read_b128 v[7:10], v18
; %bb.14:                               ;   in Loop: Header=BB12_3 Depth=1
	s_or_b32 exec_lo, exec_lo, s26
.LBB12_15:                              ;   in Loop: Header=BB12_3 Depth=1
	s_or_b32 exec_lo, exec_lo, s6
	s_waitcnt lgkmcnt(0)
	s_barrier
	buffer_gl0_inv
	ds_read_b128 v[33:36], v11
	v_mov_b32_e32 v3, 0
	v_mov_b32_e32 v4, 0
	s_waitcnt lgkmcnt(0)
	v_add_f64 v[7:8], v[7:8], v[33:34]
	v_add_f64 v[9:10], v[9:10], v[35:36]
	ds_write_b128 v11, v[7:10]
	s_waitcnt lgkmcnt(0)
	s_barrier
	buffer_gl0_inv
	s_and_saveexec_b32 s6, s3
	s_cbranch_execz .LBB12_19
; %bb.16:                               ;   in Loop: Header=BB12_3 Depth=1
	ds_read_b32 v1, v12
	ds_read_b32 v7, v19
	v_mov_b32_e32 v3, 0
	v_mov_b32_e32 v5, 0
	;; [unrolled: 1-line block ×4, first 2 shown]
	s_mov_b32 s26, exec_lo
	s_waitcnt lgkmcnt(0)
	v_cmpx_eq_u32_e64 v1, v7
; %bb.17:                               ;   in Loop: Header=BB12_3 Depth=1
	ds_read_b128 v[3:6], v20
; %bb.18:                               ;   in Loop: Header=BB12_3 Depth=1
	s_or_b32 exec_lo, exec_lo, s26
.LBB12_19:                              ;   in Loop: Header=BB12_3 Depth=1
	s_or_b32 exec_lo, exec_lo, s6
	s_waitcnt lgkmcnt(0)
	s_barrier
	buffer_gl0_inv
	ds_read_b128 v[7:10], v11
	s_waitcnt lgkmcnt(0)
	v_add_f64 v[33:34], v[3:4], v[7:8]
	v_add_f64 v[35:36], v[5:6], v[9:10]
	v_mov_b32_e32 v5, 0
	v_mov_b32_e32 v9, 0
	;; [unrolled: 1-line block ×6, first 2 shown]
	ds_write_b128 v11, v[33:36]
	s_waitcnt lgkmcnt(0)
	s_barrier
	buffer_gl0_inv
	s_and_saveexec_b32 s6, s4
	s_cbranch_execz .LBB12_23
; %bb.20:                               ;   in Loop: Header=BB12_3 Depth=1
	ds_read_b32 v1, v12
	ds_read_b32 v3, v21
	v_mov_b32_e32 v7, 0
	v_mov_b32_e32 v9, 0
	;; [unrolled: 1-line block ×4, first 2 shown]
	s_mov_b32 s26, exec_lo
	s_waitcnt lgkmcnt(0)
	v_cmpx_eq_u32_e64 v1, v3
; %bb.21:                               ;   in Loop: Header=BB12_3 Depth=1
	ds_read_b128 v[7:10], v22
; %bb.22:                               ;   in Loop: Header=BB12_3 Depth=1
	s_or_b32 exec_lo, exec_lo, s26
.LBB12_23:                              ;   in Loop: Header=BB12_3 Depth=1
	s_or_b32 exec_lo, exec_lo, s6
	s_waitcnt lgkmcnt(0)
	s_barrier
	buffer_gl0_inv
	ds_read_b128 v[33:36], v11
	v_mov_b32_e32 v3, 0
	v_mov_b32_e32 v4, 0
	s_waitcnt lgkmcnt(0)
	v_add_f64 v[7:8], v[7:8], v[33:34]
	v_add_f64 v[9:10], v[9:10], v[35:36]
	ds_write_b128 v11, v[7:10]
	s_waitcnt lgkmcnt(0)
	s_barrier
	buffer_gl0_inv
	s_and_saveexec_b32 s6, s5
	s_cbranch_execz .LBB12_27
; %bb.24:                               ;   in Loop: Header=BB12_3 Depth=1
	ds_read_b32 v1, v12
	ds_read_b32 v7, v23
	v_mov_b32_e32 v3, 0
	v_mov_b32_e32 v5, 0
	;; [unrolled: 1-line block ×4, first 2 shown]
	s_mov_b32 s26, exec_lo
	s_waitcnt lgkmcnt(0)
	v_cmpx_eq_u32_e64 v1, v7
; %bb.25:                               ;   in Loop: Header=BB12_3 Depth=1
	ds_read_b128 v[3:6], v24
; %bb.26:                               ;   in Loop: Header=BB12_3 Depth=1
	s_or_b32 exec_lo, exec_lo, s26
.LBB12_27:                              ;   in Loop: Header=BB12_3 Depth=1
	s_or_b32 exec_lo, exec_lo, s6
	s_waitcnt lgkmcnt(0)
	s_barrier
	buffer_gl0_inv
	ds_read_b128 v[7:10], v11
	s_waitcnt lgkmcnt(0)
	v_add_f64 v[33:34], v[3:4], v[7:8]
	v_add_f64 v[35:36], v[5:6], v[9:10]
	v_mov_b32_e32 v5, 0
	v_mov_b32_e32 v9, 0
	;; [unrolled: 1-line block ×6, first 2 shown]
	ds_write_b128 v11, v[33:36]
	s_waitcnt lgkmcnt(0)
	s_barrier
	buffer_gl0_inv
	s_and_saveexec_b32 s6, s8
	s_cbranch_execz .LBB12_31
; %bb.28:                               ;   in Loop: Header=BB12_3 Depth=1
	ds_read_b32 v1, v12
	ds_read_b32 v3, v25
	v_mov_b32_e32 v7, 0
	v_mov_b32_e32 v9, 0
	;; [unrolled: 1-line block ×4, first 2 shown]
	s_mov_b32 s26, exec_lo
	s_waitcnt lgkmcnt(0)
	v_cmpx_eq_u32_e64 v1, v3
; %bb.29:                               ;   in Loop: Header=BB12_3 Depth=1
	ds_read_b128 v[7:10], v26
; %bb.30:                               ;   in Loop: Header=BB12_3 Depth=1
	s_or_b32 exec_lo, exec_lo, s26
.LBB12_31:                              ;   in Loop: Header=BB12_3 Depth=1
	s_or_b32 exec_lo, exec_lo, s6
	s_waitcnt lgkmcnt(0)
	s_barrier
	buffer_gl0_inv
	ds_read_b128 v[33:36], v11
	v_mov_b32_e32 v3, 0
	v_mov_b32_e32 v4, 0
	s_waitcnt lgkmcnt(0)
	v_add_f64 v[7:8], v[7:8], v[33:34]
	v_add_f64 v[9:10], v[9:10], v[35:36]
	ds_write_b128 v11, v[7:10]
	s_waitcnt lgkmcnt(0)
	s_barrier
	buffer_gl0_inv
	s_and_saveexec_b32 s6, s9
	s_cbranch_execz .LBB12_35
; %bb.32:                               ;   in Loop: Header=BB12_3 Depth=1
	ds_read_b32 v1, v12
	ds_read_b32 v7, v27
	v_mov_b32_e32 v3, 0
	v_mov_b32_e32 v5, 0
	;; [unrolled: 1-line block ×4, first 2 shown]
	s_mov_b32 s26, exec_lo
	s_waitcnt lgkmcnt(0)
	v_cmpx_eq_u32_e64 v1, v7
; %bb.33:                               ;   in Loop: Header=BB12_3 Depth=1
	ds_read_b128 v[3:6], v28
; %bb.34:                               ;   in Loop: Header=BB12_3 Depth=1
	s_or_b32 exec_lo, exec_lo, s26
.LBB12_35:                              ;   in Loop: Header=BB12_3 Depth=1
	s_or_b32 exec_lo, exec_lo, s6
	s_waitcnt lgkmcnt(0)
	s_barrier
	buffer_gl0_inv
	ds_read_b128 v[7:10], v11
	s_waitcnt lgkmcnt(0)
	v_add_f64 v[33:34], v[3:4], v[7:8]
	v_add_f64 v[35:36], v[5:6], v[9:10]
	v_mov_b32_e32 v5, 0
	v_mov_b32_e32 v9, 0
	v_mov_b32_e32 v7, 0
	v_mov_b32_e32 v6, 0
	v_mov_b32_e32 v10, 0
	v_mov_b32_e32 v8, 0
	ds_write_b128 v11, v[33:36]
	s_waitcnt lgkmcnt(0)
	s_barrier
	buffer_gl0_inv
	s_and_saveexec_b32 s6, s10
	s_cbranch_execz .LBB12_39
; %bb.36:                               ;   in Loop: Header=BB12_3 Depth=1
	ds_read_b32 v1, v12
	ds_read_b32 v3, v29
	v_mov_b32_e32 v7, 0
	v_mov_b32_e32 v9, 0
	;; [unrolled: 1-line block ×4, first 2 shown]
	s_mov_b32 s26, exec_lo
	s_waitcnt lgkmcnt(0)
	v_cmpx_eq_u32_e64 v1, v3
; %bb.37:                               ;   in Loop: Header=BB12_3 Depth=1
	ds_read_b128 v[7:10], v30
; %bb.38:                               ;   in Loop: Header=BB12_3 Depth=1
	s_or_b32 exec_lo, exec_lo, s26
.LBB12_39:                              ;   in Loop: Header=BB12_3 Depth=1
	s_or_b32 exec_lo, exec_lo, s6
	s_waitcnt lgkmcnt(0)
	s_barrier
	buffer_gl0_inv
	ds_read_b128 v[33:36], v11
	v_mov_b32_e32 v3, 0
	v_mov_b32_e32 v4, 0
	s_waitcnt lgkmcnt(0)
	v_add_f64 v[7:8], v[7:8], v[33:34]
	v_add_f64 v[9:10], v[9:10], v[35:36]
	ds_write_b128 v11, v[7:10]
	s_waitcnt lgkmcnt(0)
	s_barrier
	buffer_gl0_inv
	s_and_saveexec_b32 s6, s11
	s_cbranch_execz .LBB12_43
; %bb.40:                               ;   in Loop: Header=BB12_3 Depth=1
	ds_read_b32 v1, v12
	ds_read_b32 v7, v31
	v_mov_b32_e32 v3, 0
	v_mov_b32_e32 v5, 0
	v_mov_b32_e32 v4, 0
	v_mov_b32_e32 v6, 0
	s_mov_b32 s26, exec_lo
	s_waitcnt lgkmcnt(0)
	v_cmpx_eq_u32_e64 v1, v7
; %bb.41:                               ;   in Loop: Header=BB12_3 Depth=1
	ds_read_b128 v[3:6], v32
; %bb.42:                               ;   in Loop: Header=BB12_3 Depth=1
	s_or_b32 exec_lo, exec_lo, s26
.LBB12_43:                              ;   in Loop: Header=BB12_3 Depth=1
	s_or_b32 exec_lo, exec_lo, s6
	s_waitcnt lgkmcnt(0)
	s_barrier
	buffer_gl0_inv
	ds_read_b128 v[7:10], v11
	s_waitcnt lgkmcnt(0)
	v_add_f64 v[3:4], v[3:4], v[7:8]
	v_add_f64 v[5:6], v[5:6], v[9:10]
	ds_write_b128 v11, v[3:6]
	s_waitcnt lgkmcnt(0)
	s_barrier
	buffer_gl0_inv
	ds_read_b32 v1, v12
	v_mov_b32_e32 v3, -1
	s_and_saveexec_b32 s6, s7
; %bb.44:                               ;   in Loop: Header=BB12_3 Depth=1
	ds_read_b32 v3, v12 offset:4
; %bb.45:                               ;   in Loop: Header=BB12_3 Depth=1
	s_or_b32 exec_lo, exec_lo, s6
	s_waitcnt lgkmcnt(0)
	v_cmp_ne_u32_e32 vcc_lo, v1, v3
	v_cmp_lt_i32_e64 s6, -1, v1
	s_and_b32 s26, s6, vcc_lo
	s_and_saveexec_b32 s6, s26
	s_cbranch_execz .LBB12_2
; %bb.46:                               ;   in Loop: Header=BB12_3 Depth=1
	s_and_b32 vcc_lo, exec_lo, s22
	s_mov_b32 s26, -1
	s_cbranch_vccz .LBB12_48
; %bb.47:                               ;   in Loop: Header=BB12_3 Depth=1
	v_mad_u64_u32 v[3:4], null, s18, v1, 0
	ds_read_b128 v[7:10], v11
	s_mov_b32 s26, 0
	v_mad_u64_u32 v[4:5], null, s19, v1, v[4:5]
	v_lshlrev_b64 v[3:4], 4, v[3:4]
	v_add_co_u32 v33, vcc_lo, s23, v3
	v_add_co_ci_u32_e64 v34, null, s24, v4, vcc_lo
	global_load_dwordx4 v[3:6], v[33:34], off
	s_waitcnt vmcnt(0) lgkmcnt(0)
	v_add_f64 v[3:4], v[7:8], v[3:4]
	v_add_f64 v[5:6], v[9:10], v[5:6]
	global_store_dwordx4 v[33:34], v[3:6], off
.LBB12_48:                              ;   in Loop: Header=BB12_3 Depth=1
	s_andn2_b32 vcc_lo, exec_lo, s26
	s_cbranch_vccnz .LBB12_2
; %bb.49:                               ;   in Loop: Header=BB12_3 Depth=1
	v_lshlrev_b64 v[3:4], 4, v[1:2]
	ds_read_b128 v[7:10], v11
	v_add_co_u32 v33, vcc_lo, s16, v3
	v_add_co_ci_u32_e64 v34, null, s17, v4, vcc_lo
	global_load_dwordx4 v[3:6], v[33:34], off
	s_waitcnt vmcnt(0) lgkmcnt(0)
	v_add_f64 v[3:4], v[7:8], v[3:4]
	v_add_f64 v[5:6], v[9:10], v[5:6]
	global_store_dwordx4 v[33:34], v[3:6], off
	s_branch .LBB12_2
.LBB12_50:
	s_endpgm
	.section	.rodata,"a",@progbits
	.p2align	6, 0x0
	.amdhsa_kernel _ZN9rocsparseL28csrmmnn_general_block_reduceILj1024Eii21rocsparse_complex_numIdES2_EEvT0_PKT1_PKT3_PT2_l16rocsparse_order_
		.amdhsa_group_segment_fixed_size 20480
		.amdhsa_private_segment_fixed_size 0
		.amdhsa_kernarg_size 44
		.amdhsa_user_sgpr_count 6
		.amdhsa_user_sgpr_private_segment_buffer 1
		.amdhsa_user_sgpr_dispatch_ptr 0
		.amdhsa_user_sgpr_queue_ptr 0
		.amdhsa_user_sgpr_kernarg_segment_ptr 1
		.amdhsa_user_sgpr_dispatch_id 0
		.amdhsa_user_sgpr_flat_scratch_init 0
		.amdhsa_user_sgpr_private_segment_size 0
		.amdhsa_wavefront_size32 1
		.amdhsa_uses_dynamic_stack 0
		.amdhsa_system_sgpr_private_segment_wavefront_offset 0
		.amdhsa_system_sgpr_workgroup_id_x 1
		.amdhsa_system_sgpr_workgroup_id_y 0
		.amdhsa_system_sgpr_workgroup_id_z 0
		.amdhsa_system_sgpr_workgroup_info 0
		.amdhsa_system_vgpr_workitem_id 0
		.amdhsa_next_free_vgpr 37
		.amdhsa_next_free_sgpr 28
		.amdhsa_reserve_vcc 1
		.amdhsa_reserve_flat_scratch 0
		.amdhsa_float_round_mode_32 0
		.amdhsa_float_round_mode_16_64 0
		.amdhsa_float_denorm_mode_32 3
		.amdhsa_float_denorm_mode_16_64 3
		.amdhsa_dx10_clamp 1
		.amdhsa_ieee_mode 1
		.amdhsa_fp16_overflow 0
		.amdhsa_workgroup_processor_mode 1
		.amdhsa_memory_ordered 1
		.amdhsa_forward_progress 1
		.amdhsa_shared_vgpr_count 0
		.amdhsa_exception_fp_ieee_invalid_op 0
		.amdhsa_exception_fp_denorm_src 0
		.amdhsa_exception_fp_ieee_div_zero 0
		.amdhsa_exception_fp_ieee_overflow 0
		.amdhsa_exception_fp_ieee_underflow 0
		.amdhsa_exception_fp_ieee_inexact 0
		.amdhsa_exception_int_div_zero 0
	.end_amdhsa_kernel
	.section	.text._ZN9rocsparseL28csrmmnn_general_block_reduceILj1024Eii21rocsparse_complex_numIdES2_EEvT0_PKT1_PKT3_PT2_l16rocsparse_order_,"axG",@progbits,_ZN9rocsparseL28csrmmnn_general_block_reduceILj1024Eii21rocsparse_complex_numIdES2_EEvT0_PKT1_PKT3_PT2_l16rocsparse_order_,comdat
.Lfunc_end12:
	.size	_ZN9rocsparseL28csrmmnn_general_block_reduceILj1024Eii21rocsparse_complex_numIdES2_EEvT0_PKT1_PKT3_PT2_l16rocsparse_order_, .Lfunc_end12-_ZN9rocsparseL28csrmmnn_general_block_reduceILj1024Eii21rocsparse_complex_numIdES2_EEvT0_PKT1_PKT3_PT2_l16rocsparse_order_
                                        ; -- End function
	.set _ZN9rocsparseL28csrmmnn_general_block_reduceILj1024Eii21rocsparse_complex_numIdES2_EEvT0_PKT1_PKT3_PT2_l16rocsparse_order_.num_vgpr, 37
	.set _ZN9rocsparseL28csrmmnn_general_block_reduceILj1024Eii21rocsparse_complex_numIdES2_EEvT0_PKT1_PKT3_PT2_l16rocsparse_order_.num_agpr, 0
	.set _ZN9rocsparseL28csrmmnn_general_block_reduceILj1024Eii21rocsparse_complex_numIdES2_EEvT0_PKT1_PKT3_PT2_l16rocsparse_order_.numbered_sgpr, 28
	.set _ZN9rocsparseL28csrmmnn_general_block_reduceILj1024Eii21rocsparse_complex_numIdES2_EEvT0_PKT1_PKT3_PT2_l16rocsparse_order_.num_named_barrier, 0
	.set _ZN9rocsparseL28csrmmnn_general_block_reduceILj1024Eii21rocsparse_complex_numIdES2_EEvT0_PKT1_PKT3_PT2_l16rocsparse_order_.private_seg_size, 0
	.set _ZN9rocsparseL28csrmmnn_general_block_reduceILj1024Eii21rocsparse_complex_numIdES2_EEvT0_PKT1_PKT3_PT2_l16rocsparse_order_.uses_vcc, 1
	.set _ZN9rocsparseL28csrmmnn_general_block_reduceILj1024Eii21rocsparse_complex_numIdES2_EEvT0_PKT1_PKT3_PT2_l16rocsparse_order_.uses_flat_scratch, 0
	.set _ZN9rocsparseL28csrmmnn_general_block_reduceILj1024Eii21rocsparse_complex_numIdES2_EEvT0_PKT1_PKT3_PT2_l16rocsparse_order_.has_dyn_sized_stack, 0
	.set _ZN9rocsparseL28csrmmnn_general_block_reduceILj1024Eii21rocsparse_complex_numIdES2_EEvT0_PKT1_PKT3_PT2_l16rocsparse_order_.has_recursion, 0
	.set _ZN9rocsparseL28csrmmnn_general_block_reduceILj1024Eii21rocsparse_complex_numIdES2_EEvT0_PKT1_PKT3_PT2_l16rocsparse_order_.has_indirect_call, 0
	.section	.AMDGPU.csdata,"",@progbits
; Kernel info:
; codeLenInByte = 2372
; TotalNumSgprs: 30
; NumVgprs: 37
; ScratchSize: 0
; MemoryBound: 0
; FloatMode: 240
; IeeeMode: 1
; LDSByteSize: 20480 bytes/workgroup (compile time only)
; SGPRBlocks: 0
; VGPRBlocks: 4
; NumSGPRsForWavesPerEU: 30
; NumVGPRsForWavesPerEU: 37
; Occupancy: 16
; WaveLimiterHint : 0
; COMPUTE_PGM_RSRC2:SCRATCH_EN: 0
; COMPUTE_PGM_RSRC2:USER_SGPR: 6
; COMPUTE_PGM_RSRC2:TRAP_HANDLER: 0
; COMPUTE_PGM_RSRC2:TGID_X_EN: 1
; COMPUTE_PGM_RSRC2:TGID_Y_EN: 0
; COMPUTE_PGM_RSRC2:TGID_Z_EN: 0
; COMPUTE_PGM_RSRC2:TIDIG_COMP_CNT: 0
	.section	.text._ZN9rocsparseL28csrmmnn_general_block_reduceILj1024Eli21rocsparse_complex_numIdES2_EEvT0_PKT1_PKT3_PT2_l16rocsparse_order_,"axG",@progbits,_ZN9rocsparseL28csrmmnn_general_block_reduceILj1024Eli21rocsparse_complex_numIdES2_EEvT0_PKT1_PKT3_PT2_l16rocsparse_order_,comdat
	.globl	_ZN9rocsparseL28csrmmnn_general_block_reduceILj1024Eli21rocsparse_complex_numIdES2_EEvT0_PKT1_PKT3_PT2_l16rocsparse_order_ ; -- Begin function _ZN9rocsparseL28csrmmnn_general_block_reduceILj1024Eli21rocsparse_complex_numIdES2_EEvT0_PKT1_PKT3_PT2_l16rocsparse_order_
	.p2align	8
	.type	_ZN9rocsparseL28csrmmnn_general_block_reduceILj1024Eli21rocsparse_complex_numIdES2_EEvT0_PKT1_PKT3_PT2_l16rocsparse_order_,@function
_ZN9rocsparseL28csrmmnn_general_block_reduceILj1024Eli21rocsparse_complex_numIdES2_EEvT0_PKT1_PKT3_PT2_l16rocsparse_order_: ; @_ZN9rocsparseL28csrmmnn_general_block_reduceILj1024Eli21rocsparse_complex_numIdES2_EEvT0_PKT1_PKT3_PT2_l16rocsparse_order_
; %bb.0:
	s_load_dwordx2 s[20:21], s[4:5], 0x0
	v_mov_b32_e32 v7, -1
	v_mov_b32_e32 v1, 0
	v_lshlrev_b32_e32 v2, 3, v0
	v_lshlrev_b32_e32 v14, 4, v0
	s_mov_b32 s7, 0
	v_mov_b32_e32 v8, v7
	v_mov_b32_e32 v3, v1
	;; [unrolled: 1-line block ×5, first 2 shown]
	ds_write_b64 v2, v[7:8] offset:16384
	s_mov_b32 s0, exec_lo
	ds_write_b128 v14, v[3:6]
	s_waitcnt lgkmcnt(0)
	s_barrier
	buffer_gl0_inv
	v_cmpx_gt_i64_e64 s[20:21], v[0:1]
	s_cbranch_execz .LBB13_50
; %bb.1:
	s_clause 0x1
	s_load_dwordx8 s[12:19], s[4:5], 0x8
	s_load_dword s24, s[4:5], 0x28
	s_lshl_b64 s[8:9], s[6:7], 4
	v_or_b32_e32 v15, 0x4000, v2
	v_lshlrev_b32_e32 v2, 4, v0
	v_lshlrev_b32_e32 v3, 2, v0
	v_cmp_ne_u32_e64 s0, 0, v0
	v_add_nc_u32_e32 v16, -16, v14
	v_cmp_lt_u32_e64 s1, 1, v0
	v_subrev_nc_u32_e32 v17, 32, v14
	v_cmp_lt_u32_e64 s2, 3, v0
	v_subrev_nc_u32_e32 v18, 64, v14
	v_cmp_lt_u32_e64 s3, 7, v0
	v_add_nc_u32_e32 v19, 0xffffff80, v14
	v_cmp_lt_u32_e64 s4, 15, v0
	v_add_nc_u32_e32 v20, 0xffffff00, v14
	v_cmp_lt_u32_e64 s5, 31, v0
	v_add_nc_u32_e32 v21, -8, v15
	v_add_nc_u32_e32 v22, -16, v15
	v_subrev_nc_u32_e32 v23, 32, v15
	s_waitcnt lgkmcnt(0)
	s_add_u32 s22, s16, s8
	s_addc_u32 s23, s17, s9
	s_cmp_lg_u32 s24, 1
	s_mul_i32 s25, s19, s6
	s_mul_hi_u32 s26, s18, s6
	s_cselect_b32 s24, -1, 0
	s_add_i32 s27, s26, s25
	s_mul_i32 s26, s18, s6
	s_mul_i32 s25, s21, s6
	s_lshl_b64 s[26:27], s[26:27], 4
	v_add_co_u32 v12, s12, s12, v3
	s_add_u32 s16, s16, s26
	s_mul_hi_u32 s26, s20, s6
	s_addc_u32 s17, s17, s27
	s_add_i32 s27, s26, s25
	s_mul_i32 s26, s20, s6
	v_subrev_nc_u32_e32 v24, 64, v15
	s_lshl_b64 s[26:27], s[26:27], 4
	v_add_nc_u32_e32 v25, 0xffffff80, v15
	s_add_u32 s14, s14, s26
	s_addc_u32 s15, s15, s27
	v_add_co_u32 v10, s14, s14, v2
	v_add_nc_u32_e32 v26, 0xffffff00, v15
	v_add_nc_u32_e32 v27, 0xfffffe00, v14
	v_cmp_lt_u32_e64 s8, 63, v0
	v_add_nc_u32_e32 v28, 0xfffffe00, v15
	v_add_nc_u32_e32 v29, 0xfffffc00, v14
	v_cmp_lt_u32_e64 s9, 0x7f, v0
	v_add_nc_u32_e32 v30, 0xfffffc00, v15
	v_add_nc_u32_e32 v31, 0xfffff800, v14
	v_cmp_lt_u32_e64 s10, 0xff, v0
	v_add_nc_u32_e32 v32, 0xfffff800, v15
	v_add_nc_u32_e32 v33, 0xfffff000, v14
	v_cmp_lt_u32_e64 s11, 0x1ff, v0
	v_add_nc_u32_e32 v34, 0xfffff000, v15
	v_add_nc_u32_e32 v35, 0xffffe000, v14
	v_cmp_ne_u32_e64 s6, 0x3ff, v0
	v_add_co_ci_u32_e64 v11, null, s15, 0, s14
	v_add_co_ci_u32_e64 v13, null, s13, 0, s12
	s_branch .LBB13_3
.LBB13_2:                               ;   in Loop: Header=BB13_3 Depth=1
	s_or_b32 exec_lo, exec_lo, s12
	v_add_co_u32 v0, vcc_lo, 0x400, v0
	v_add_co_ci_u32_e64 v1, null, 0, v1, vcc_lo
	v_add_co_u32 v10, vcc_lo, 0x4000, v10
	v_add_co_ci_u32_e64 v11, null, 0, v11, vcc_lo
	v_cmp_le_i64_e32 vcc_lo, s[20:21], v[0:1]
	v_add_co_u32 v12, s12, 0x1000, v12
	v_add_co_ci_u32_e64 v13, null, 0, v13, s12
	s_waitcnt_vscnt null, 0x0
	s_or_b32 s7, vcc_lo, s7
	s_barrier
	buffer_gl0_inv
	s_andn2_b32 exec_lo, exec_lo, s7
	s_cbranch_execz .LBB13_50
.LBB13_3:                               ; =>This Inner Loop Header: Depth=1
	global_load_dword v2, v[12:13], off
	global_load_dwordx4 v[36:39], v[10:11], off
	v_mov_b32_e32 v4, 0
	v_mov_b32_e32 v8, 0
	;; [unrolled: 1-line block ×6, first 2 shown]
	s_waitcnt vmcnt(1)
	v_ashrrev_i32_e32 v3, 31, v2
	s_waitcnt vmcnt(0)
	ds_write2_b64 v14, v[36:37], v[38:39] offset1:1
	ds_write_b64 v15, v[2:3]
	s_waitcnt lgkmcnt(0)
	s_barrier
	buffer_gl0_inv
	s_and_saveexec_b32 s12, s0
	s_cbranch_execz .LBB13_7
; %bb.4:                                ;   in Loop: Header=BB13_3 Depth=1
	ds_read2_b64 v[36:39], v21 offset1:1
	v_mov_b32_e32 v6, 0
	v_mov_b32_e32 v8, 0
	;; [unrolled: 1-line block ×4, first 2 shown]
	s_mov_b32 s13, exec_lo
	s_waitcnt lgkmcnt(0)
	v_cmpx_eq_u64_e64 v[38:39], v[36:37]
; %bb.5:                                ;   in Loop: Header=BB13_3 Depth=1
	ds_read_b128 v[6:9], v16
; %bb.6:                                ;   in Loop: Header=BB13_3 Depth=1
	s_or_b32 exec_lo, exec_lo, s13
.LBB13_7:                               ;   in Loop: Header=BB13_3 Depth=1
	s_or_b32 exec_lo, exec_lo, s12
	s_waitcnt lgkmcnt(0)
	s_barrier
	buffer_gl0_inv
	ds_read_b128 v[36:39], v14
	v_mov_b32_e32 v2, 0
	v_mov_b32_e32 v3, 0
	s_waitcnt lgkmcnt(0)
	v_add_f64 v[6:7], v[6:7], v[36:37]
	v_add_f64 v[8:9], v[8:9], v[38:39]
	ds_write_b128 v14, v[6:9]
	s_waitcnt lgkmcnt(0)
	s_barrier
	buffer_gl0_inv
	s_and_saveexec_b32 s12, s1
	s_cbranch_execz .LBB13_11
; %bb.8:                                ;   in Loop: Header=BB13_3 Depth=1
	ds_read_b64 v[4:5], v15
	ds_read_b64 v[6:7], v22
	v_mov_b32_e32 v2, 0
	v_mov_b32_e32 v3, 0
	s_waitcnt lgkmcnt(0)
	v_cmp_eq_u64_e32 vcc_lo, v[4:5], v[6:7]
	v_mov_b32_e32 v4, 0
	v_mov_b32_e32 v5, 0
	s_and_saveexec_b32 s13, vcc_lo
; %bb.9:                                ;   in Loop: Header=BB13_3 Depth=1
	ds_read_b128 v[2:5], v17
; %bb.10:                               ;   in Loop: Header=BB13_3 Depth=1
	s_or_b32 exec_lo, exec_lo, s13
.LBB13_11:                              ;   in Loop: Header=BB13_3 Depth=1
	s_or_b32 exec_lo, exec_lo, s12
	s_waitcnt lgkmcnt(0)
	s_barrier
	buffer_gl0_inv
	ds_read_b128 v[6:9], v14
	s_waitcnt lgkmcnt(0)
	v_add_f64 v[36:37], v[2:3], v[6:7]
	v_add_f64 v[38:39], v[4:5], v[8:9]
	v_mov_b32_e32 v4, 0
	v_mov_b32_e32 v8, 0
	;; [unrolled: 1-line block ×6, first 2 shown]
	ds_write_b128 v14, v[36:39]
	s_waitcnt lgkmcnt(0)
	s_barrier
	buffer_gl0_inv
	s_and_saveexec_b32 s12, s2
	s_cbranch_execz .LBB13_15
; %bb.12:                               ;   in Loop: Header=BB13_3 Depth=1
	ds_read_b64 v[2:3], v15
	ds_read_b64 v[8:9], v23
	v_mov_b32_e32 v6, 0
	v_mov_b32_e32 v7, 0
	s_waitcnt lgkmcnt(0)
	v_cmp_eq_u64_e32 vcc_lo, v[2:3], v[8:9]
	v_mov_b32_e32 v8, 0
	v_mov_b32_e32 v9, 0
	s_and_saveexec_b32 s13, vcc_lo
; %bb.13:                               ;   in Loop: Header=BB13_3 Depth=1
	ds_read_b128 v[6:9], v18
; %bb.14:                               ;   in Loop: Header=BB13_3 Depth=1
	s_or_b32 exec_lo, exec_lo, s13
.LBB13_15:                              ;   in Loop: Header=BB13_3 Depth=1
	s_or_b32 exec_lo, exec_lo, s12
	s_waitcnt lgkmcnt(0)
	s_barrier
	buffer_gl0_inv
	ds_read_b128 v[36:39], v14
	v_mov_b32_e32 v2, 0
	v_mov_b32_e32 v3, 0
	s_waitcnt lgkmcnt(0)
	v_add_f64 v[6:7], v[6:7], v[36:37]
	v_add_f64 v[8:9], v[8:9], v[38:39]
	ds_write_b128 v14, v[6:9]
	s_waitcnt lgkmcnt(0)
	s_barrier
	buffer_gl0_inv
	s_and_saveexec_b32 s12, s3
	s_cbranch_execz .LBB13_19
; %bb.16:                               ;   in Loop: Header=BB13_3 Depth=1
	ds_read_b64 v[4:5], v15
	ds_read_b64 v[6:7], v24
	v_mov_b32_e32 v2, 0
	v_mov_b32_e32 v3, 0
	s_waitcnt lgkmcnt(0)
	v_cmp_eq_u64_e32 vcc_lo, v[4:5], v[6:7]
	v_mov_b32_e32 v4, 0
	v_mov_b32_e32 v5, 0
	s_and_saveexec_b32 s13, vcc_lo
; %bb.17:                               ;   in Loop: Header=BB13_3 Depth=1
	ds_read_b128 v[2:5], v19
; %bb.18:                               ;   in Loop: Header=BB13_3 Depth=1
	s_or_b32 exec_lo, exec_lo, s13
.LBB13_19:                              ;   in Loop: Header=BB13_3 Depth=1
	s_or_b32 exec_lo, exec_lo, s12
	s_waitcnt lgkmcnt(0)
	s_barrier
	buffer_gl0_inv
	ds_read_b128 v[6:9], v14
	s_waitcnt lgkmcnt(0)
	v_add_f64 v[36:37], v[2:3], v[6:7]
	v_add_f64 v[38:39], v[4:5], v[8:9]
	v_mov_b32_e32 v4, 0
	v_mov_b32_e32 v8, 0
	;; [unrolled: 1-line block ×6, first 2 shown]
	ds_write_b128 v14, v[36:39]
	s_waitcnt lgkmcnt(0)
	s_barrier
	buffer_gl0_inv
	s_and_saveexec_b32 s12, s4
	s_cbranch_execz .LBB13_23
; %bb.20:                               ;   in Loop: Header=BB13_3 Depth=1
	ds_read_b64 v[2:3], v15
	ds_read_b64 v[8:9], v25
	v_mov_b32_e32 v6, 0
	v_mov_b32_e32 v7, 0
	s_waitcnt lgkmcnt(0)
	v_cmp_eq_u64_e32 vcc_lo, v[2:3], v[8:9]
	v_mov_b32_e32 v8, 0
	v_mov_b32_e32 v9, 0
	s_and_saveexec_b32 s13, vcc_lo
; %bb.21:                               ;   in Loop: Header=BB13_3 Depth=1
	ds_read_b128 v[6:9], v20
; %bb.22:                               ;   in Loop: Header=BB13_3 Depth=1
	s_or_b32 exec_lo, exec_lo, s13
.LBB13_23:                              ;   in Loop: Header=BB13_3 Depth=1
	s_or_b32 exec_lo, exec_lo, s12
	s_waitcnt lgkmcnt(0)
	s_barrier
	buffer_gl0_inv
	ds_read_b128 v[36:39], v14
	v_mov_b32_e32 v2, 0
	v_mov_b32_e32 v3, 0
	s_waitcnt lgkmcnt(0)
	v_add_f64 v[6:7], v[6:7], v[36:37]
	v_add_f64 v[8:9], v[8:9], v[38:39]
	ds_write_b128 v14, v[6:9]
	s_waitcnt lgkmcnt(0)
	s_barrier
	buffer_gl0_inv
	s_and_saveexec_b32 s12, s5
	s_cbranch_execz .LBB13_27
; %bb.24:                               ;   in Loop: Header=BB13_3 Depth=1
	ds_read_b64 v[4:5], v15
	ds_read_b64 v[6:7], v26
	v_mov_b32_e32 v2, 0
	v_mov_b32_e32 v3, 0
	s_waitcnt lgkmcnt(0)
	v_cmp_eq_u64_e32 vcc_lo, v[4:5], v[6:7]
	v_mov_b32_e32 v4, 0
	v_mov_b32_e32 v5, 0
	s_and_saveexec_b32 s13, vcc_lo
; %bb.25:                               ;   in Loop: Header=BB13_3 Depth=1
	ds_read_b128 v[2:5], v27
; %bb.26:                               ;   in Loop: Header=BB13_3 Depth=1
	s_or_b32 exec_lo, exec_lo, s13
.LBB13_27:                              ;   in Loop: Header=BB13_3 Depth=1
	s_or_b32 exec_lo, exec_lo, s12
	s_waitcnt lgkmcnt(0)
	s_barrier
	buffer_gl0_inv
	ds_read_b128 v[6:9], v14
	s_waitcnt lgkmcnt(0)
	v_add_f64 v[36:37], v[2:3], v[6:7]
	v_add_f64 v[38:39], v[4:5], v[8:9]
	v_mov_b32_e32 v4, 0
	v_mov_b32_e32 v8, 0
	;; [unrolled: 1-line block ×6, first 2 shown]
	ds_write_b128 v14, v[36:39]
	s_waitcnt lgkmcnt(0)
	s_barrier
	buffer_gl0_inv
	s_and_saveexec_b32 s12, s8
	s_cbranch_execz .LBB13_31
; %bb.28:                               ;   in Loop: Header=BB13_3 Depth=1
	ds_read_b64 v[2:3], v15
	ds_read_b64 v[8:9], v28
	v_mov_b32_e32 v6, 0
	v_mov_b32_e32 v7, 0
	s_waitcnt lgkmcnt(0)
	v_cmp_eq_u64_e32 vcc_lo, v[2:3], v[8:9]
	v_mov_b32_e32 v8, 0
	v_mov_b32_e32 v9, 0
	s_and_saveexec_b32 s13, vcc_lo
; %bb.29:                               ;   in Loop: Header=BB13_3 Depth=1
	ds_read_b128 v[6:9], v29
; %bb.30:                               ;   in Loop: Header=BB13_3 Depth=1
	s_or_b32 exec_lo, exec_lo, s13
.LBB13_31:                              ;   in Loop: Header=BB13_3 Depth=1
	s_or_b32 exec_lo, exec_lo, s12
	s_waitcnt lgkmcnt(0)
	s_barrier
	buffer_gl0_inv
	ds_read_b128 v[36:39], v14
	v_mov_b32_e32 v2, 0
	v_mov_b32_e32 v3, 0
	s_waitcnt lgkmcnt(0)
	v_add_f64 v[6:7], v[6:7], v[36:37]
	v_add_f64 v[8:9], v[8:9], v[38:39]
	ds_write_b128 v14, v[6:9]
	s_waitcnt lgkmcnt(0)
	s_barrier
	buffer_gl0_inv
	s_and_saveexec_b32 s12, s9
	s_cbranch_execz .LBB13_35
; %bb.32:                               ;   in Loop: Header=BB13_3 Depth=1
	ds_read_b64 v[4:5], v15
	ds_read_b64 v[6:7], v30
	v_mov_b32_e32 v2, 0
	v_mov_b32_e32 v3, 0
	s_waitcnt lgkmcnt(0)
	v_cmp_eq_u64_e32 vcc_lo, v[4:5], v[6:7]
	v_mov_b32_e32 v4, 0
	v_mov_b32_e32 v5, 0
	s_and_saveexec_b32 s13, vcc_lo
; %bb.33:                               ;   in Loop: Header=BB13_3 Depth=1
	ds_read_b128 v[2:5], v31
; %bb.34:                               ;   in Loop: Header=BB13_3 Depth=1
	s_or_b32 exec_lo, exec_lo, s13
.LBB13_35:                              ;   in Loop: Header=BB13_3 Depth=1
	s_or_b32 exec_lo, exec_lo, s12
	s_waitcnt lgkmcnt(0)
	s_barrier
	buffer_gl0_inv
	ds_read_b128 v[6:9], v14
	s_waitcnt lgkmcnt(0)
	v_add_f64 v[36:37], v[2:3], v[6:7]
	v_add_f64 v[38:39], v[4:5], v[8:9]
	v_mov_b32_e32 v4, 0
	v_mov_b32_e32 v8, 0
	;; [unrolled: 1-line block ×6, first 2 shown]
	ds_write_b128 v14, v[36:39]
	s_waitcnt lgkmcnt(0)
	s_barrier
	buffer_gl0_inv
	s_and_saveexec_b32 s12, s10
	s_cbranch_execz .LBB13_39
; %bb.36:                               ;   in Loop: Header=BB13_3 Depth=1
	ds_read_b64 v[2:3], v15
	ds_read_b64 v[8:9], v32
	v_mov_b32_e32 v6, 0
	v_mov_b32_e32 v7, 0
	s_waitcnt lgkmcnt(0)
	v_cmp_eq_u64_e32 vcc_lo, v[2:3], v[8:9]
	v_mov_b32_e32 v8, 0
	v_mov_b32_e32 v9, 0
	s_and_saveexec_b32 s13, vcc_lo
; %bb.37:                               ;   in Loop: Header=BB13_3 Depth=1
	ds_read_b128 v[6:9], v33
; %bb.38:                               ;   in Loop: Header=BB13_3 Depth=1
	s_or_b32 exec_lo, exec_lo, s13
.LBB13_39:                              ;   in Loop: Header=BB13_3 Depth=1
	s_or_b32 exec_lo, exec_lo, s12
	s_waitcnt lgkmcnt(0)
	s_barrier
	buffer_gl0_inv
	ds_read_b128 v[36:39], v14
	v_mov_b32_e32 v2, 0
	v_mov_b32_e32 v3, 0
	s_waitcnt lgkmcnt(0)
	v_add_f64 v[6:7], v[6:7], v[36:37]
	v_add_f64 v[8:9], v[8:9], v[38:39]
	ds_write_b128 v14, v[6:9]
	s_waitcnt lgkmcnt(0)
	s_barrier
	buffer_gl0_inv
	s_and_saveexec_b32 s12, s11
	s_cbranch_execz .LBB13_43
; %bb.40:                               ;   in Loop: Header=BB13_3 Depth=1
	ds_read_b64 v[4:5], v15
	ds_read_b64 v[6:7], v34
	v_mov_b32_e32 v2, 0
	v_mov_b32_e32 v3, 0
	s_waitcnt lgkmcnt(0)
	v_cmp_eq_u64_e32 vcc_lo, v[4:5], v[6:7]
	v_mov_b32_e32 v4, 0
	v_mov_b32_e32 v5, 0
	s_and_saveexec_b32 s13, vcc_lo
; %bb.41:                               ;   in Loop: Header=BB13_3 Depth=1
	ds_read_b128 v[2:5], v35
; %bb.42:                               ;   in Loop: Header=BB13_3 Depth=1
	s_or_b32 exec_lo, exec_lo, s13
.LBB13_43:                              ;   in Loop: Header=BB13_3 Depth=1
	s_or_b32 exec_lo, exec_lo, s12
	s_waitcnt lgkmcnt(0)
	s_barrier
	buffer_gl0_inv
	ds_read_b128 v[6:9], v14
	s_waitcnt lgkmcnt(0)
	v_add_f64 v[2:3], v[2:3], v[6:7]
	v_add_f64 v[4:5], v[4:5], v[8:9]
	ds_write_b128 v14, v[2:5]
	s_waitcnt lgkmcnt(0)
	s_barrier
	buffer_gl0_inv
	ds_read_b64 v[2:3], v15
	v_mov_b32_e32 v4, -1
	v_mov_b32_e32 v5, -1
	s_and_saveexec_b32 s12, s6
; %bb.44:                               ;   in Loop: Header=BB13_3 Depth=1
	ds_read_b64 v[4:5], v15 offset:8
; %bb.45:                               ;   in Loop: Header=BB13_3 Depth=1
	s_or_b32 exec_lo, exec_lo, s12
	s_waitcnt lgkmcnt(0)
	v_cmp_ne_u64_e32 vcc_lo, v[2:3], v[4:5]
	v_cmp_lt_i64_e64 s12, -1, v[2:3]
	s_and_b32 s13, s12, vcc_lo
	s_and_saveexec_b32 s12, s13
	s_cbranch_execz .LBB13_2
; %bb.46:                               ;   in Loop: Header=BB13_3 Depth=1
	s_and_b32 vcc_lo, exec_lo, s24
	s_mov_b32 s13, -1
	s_cbranch_vccz .LBB13_48
; %bb.47:                               ;   in Loop: Header=BB13_3 Depth=1
	v_mul_lo_u32 v6, v3, s18
	v_mul_lo_u32 v7, v2, s19
	v_mad_u64_u32 v[4:5], null, v2, s18, 0
	ds_read_b128 v[36:39], v14
	s_mov_b32 s13, 0
	v_add3_u32 v5, v5, v7, v6
	v_lshlrev_b64 v[4:5], 4, v[4:5]
	v_add_co_u32 v8, vcc_lo, s22, v4
	v_add_co_ci_u32_e64 v9, null, s23, v5, vcc_lo
	global_load_dwordx4 v[4:7], v[8:9], off
	s_waitcnt vmcnt(0) lgkmcnt(0)
	v_add_f64 v[4:5], v[36:37], v[4:5]
	v_add_f64 v[6:7], v[38:39], v[6:7]
	global_store_dwordx4 v[8:9], v[4:7], off
.LBB13_48:                              ;   in Loop: Header=BB13_3 Depth=1
	s_andn2_b32 vcc_lo, exec_lo, s13
	s_cbranch_vccnz .LBB13_2
; %bb.49:                               ;   in Loop: Header=BB13_3 Depth=1
	v_lshlrev_b64 v[2:3], 4, v[2:3]
	ds_read_b128 v[6:9], v14
	v_add_co_u32 v36, vcc_lo, s16, v2
	v_add_co_ci_u32_e64 v37, null, s17, v3, vcc_lo
	global_load_dwordx4 v[2:5], v[36:37], off
	s_waitcnt vmcnt(0) lgkmcnt(0)
	v_add_f64 v[2:3], v[6:7], v[2:3]
	v_add_f64 v[4:5], v[8:9], v[4:5]
	global_store_dwordx4 v[36:37], v[2:5], off
	s_branch .LBB13_2
.LBB13_50:
	s_endpgm
	.section	.rodata,"a",@progbits
	.p2align	6, 0x0
	.amdhsa_kernel _ZN9rocsparseL28csrmmnn_general_block_reduceILj1024Eli21rocsparse_complex_numIdES2_EEvT0_PKT1_PKT3_PT2_l16rocsparse_order_
		.amdhsa_group_segment_fixed_size 24576
		.amdhsa_private_segment_fixed_size 0
		.amdhsa_kernarg_size 44
		.amdhsa_user_sgpr_count 6
		.amdhsa_user_sgpr_private_segment_buffer 1
		.amdhsa_user_sgpr_dispatch_ptr 0
		.amdhsa_user_sgpr_queue_ptr 0
		.amdhsa_user_sgpr_kernarg_segment_ptr 1
		.amdhsa_user_sgpr_dispatch_id 0
		.amdhsa_user_sgpr_flat_scratch_init 0
		.amdhsa_user_sgpr_private_segment_size 0
		.amdhsa_wavefront_size32 1
		.amdhsa_uses_dynamic_stack 0
		.amdhsa_system_sgpr_private_segment_wavefront_offset 0
		.amdhsa_system_sgpr_workgroup_id_x 1
		.amdhsa_system_sgpr_workgroup_id_y 0
		.amdhsa_system_sgpr_workgroup_id_z 0
		.amdhsa_system_sgpr_workgroup_info 0
		.amdhsa_system_vgpr_workitem_id 0
		.amdhsa_next_free_vgpr 40
		.amdhsa_next_free_sgpr 28
		.amdhsa_reserve_vcc 1
		.amdhsa_reserve_flat_scratch 0
		.amdhsa_float_round_mode_32 0
		.amdhsa_float_round_mode_16_64 0
		.amdhsa_float_denorm_mode_32 3
		.amdhsa_float_denorm_mode_16_64 3
		.amdhsa_dx10_clamp 1
		.amdhsa_ieee_mode 1
		.amdhsa_fp16_overflow 0
		.amdhsa_workgroup_processor_mode 1
		.amdhsa_memory_ordered 1
		.amdhsa_forward_progress 1
		.amdhsa_shared_vgpr_count 0
		.amdhsa_exception_fp_ieee_invalid_op 0
		.amdhsa_exception_fp_denorm_src 0
		.amdhsa_exception_fp_ieee_div_zero 0
		.amdhsa_exception_fp_ieee_overflow 0
		.amdhsa_exception_fp_ieee_underflow 0
		.amdhsa_exception_fp_ieee_inexact 0
		.amdhsa_exception_int_div_zero 0
	.end_amdhsa_kernel
	.section	.text._ZN9rocsparseL28csrmmnn_general_block_reduceILj1024Eli21rocsparse_complex_numIdES2_EEvT0_PKT1_PKT3_PT2_l16rocsparse_order_,"axG",@progbits,_ZN9rocsparseL28csrmmnn_general_block_reduceILj1024Eli21rocsparse_complex_numIdES2_EEvT0_PKT1_PKT3_PT2_l16rocsparse_order_,comdat
.Lfunc_end13:
	.size	_ZN9rocsparseL28csrmmnn_general_block_reduceILj1024Eli21rocsparse_complex_numIdES2_EEvT0_PKT1_PKT3_PT2_l16rocsparse_order_, .Lfunc_end13-_ZN9rocsparseL28csrmmnn_general_block_reduceILj1024Eli21rocsparse_complex_numIdES2_EEvT0_PKT1_PKT3_PT2_l16rocsparse_order_
                                        ; -- End function
	.set _ZN9rocsparseL28csrmmnn_general_block_reduceILj1024Eli21rocsparse_complex_numIdES2_EEvT0_PKT1_PKT3_PT2_l16rocsparse_order_.num_vgpr, 40
	.set _ZN9rocsparseL28csrmmnn_general_block_reduceILj1024Eli21rocsparse_complex_numIdES2_EEvT0_PKT1_PKT3_PT2_l16rocsparse_order_.num_agpr, 0
	.set _ZN9rocsparseL28csrmmnn_general_block_reduceILj1024Eli21rocsparse_complex_numIdES2_EEvT0_PKT1_PKT3_PT2_l16rocsparse_order_.numbered_sgpr, 28
	.set _ZN9rocsparseL28csrmmnn_general_block_reduceILj1024Eli21rocsparse_complex_numIdES2_EEvT0_PKT1_PKT3_PT2_l16rocsparse_order_.num_named_barrier, 0
	.set _ZN9rocsparseL28csrmmnn_general_block_reduceILj1024Eli21rocsparse_complex_numIdES2_EEvT0_PKT1_PKT3_PT2_l16rocsparse_order_.private_seg_size, 0
	.set _ZN9rocsparseL28csrmmnn_general_block_reduceILj1024Eli21rocsparse_complex_numIdES2_EEvT0_PKT1_PKT3_PT2_l16rocsparse_order_.uses_vcc, 1
	.set _ZN9rocsparseL28csrmmnn_general_block_reduceILj1024Eli21rocsparse_complex_numIdES2_EEvT0_PKT1_PKT3_PT2_l16rocsparse_order_.uses_flat_scratch, 0
	.set _ZN9rocsparseL28csrmmnn_general_block_reduceILj1024Eli21rocsparse_complex_numIdES2_EEvT0_PKT1_PKT3_PT2_l16rocsparse_order_.has_dyn_sized_stack, 0
	.set _ZN9rocsparseL28csrmmnn_general_block_reduceILj1024Eli21rocsparse_complex_numIdES2_EEvT0_PKT1_PKT3_PT2_l16rocsparse_order_.has_recursion, 0
	.set _ZN9rocsparseL28csrmmnn_general_block_reduceILj1024Eli21rocsparse_complex_numIdES2_EEvT0_PKT1_PKT3_PT2_l16rocsparse_order_.has_indirect_call, 0
	.section	.AMDGPU.csdata,"",@progbits
; Kernel info:
; codeLenInByte = 2416
; TotalNumSgprs: 30
; NumVgprs: 40
; ScratchSize: 0
; MemoryBound: 0
; FloatMode: 240
; IeeeMode: 1
; LDSByteSize: 24576 bytes/workgroup (compile time only)
; SGPRBlocks: 0
; VGPRBlocks: 4
; NumSGPRsForWavesPerEU: 30
; NumVGPRsForWavesPerEU: 40
; Occupancy: 16
; WaveLimiterHint : 0
; COMPUTE_PGM_RSRC2:SCRATCH_EN: 0
; COMPUTE_PGM_RSRC2:USER_SGPR: 6
; COMPUTE_PGM_RSRC2:TRAP_HANDLER: 0
; COMPUTE_PGM_RSRC2:TGID_X_EN: 1
; COMPUTE_PGM_RSRC2:TGID_Y_EN: 0
; COMPUTE_PGM_RSRC2:TGID_Z_EN: 0
; COMPUTE_PGM_RSRC2:TIDIG_COMP_CNT: 0
	.section	.text._ZN9rocsparseL28csrmmnn_general_block_reduceILj1024Ell21rocsparse_complex_numIdES2_EEvT0_PKT1_PKT3_PT2_l16rocsparse_order_,"axG",@progbits,_ZN9rocsparseL28csrmmnn_general_block_reduceILj1024Ell21rocsparse_complex_numIdES2_EEvT0_PKT1_PKT3_PT2_l16rocsparse_order_,comdat
	.globl	_ZN9rocsparseL28csrmmnn_general_block_reduceILj1024Ell21rocsparse_complex_numIdES2_EEvT0_PKT1_PKT3_PT2_l16rocsparse_order_ ; -- Begin function _ZN9rocsparseL28csrmmnn_general_block_reduceILj1024Ell21rocsparse_complex_numIdES2_EEvT0_PKT1_PKT3_PT2_l16rocsparse_order_
	.p2align	8
	.type	_ZN9rocsparseL28csrmmnn_general_block_reduceILj1024Ell21rocsparse_complex_numIdES2_EEvT0_PKT1_PKT3_PT2_l16rocsparse_order_,@function
_ZN9rocsparseL28csrmmnn_general_block_reduceILj1024Ell21rocsparse_complex_numIdES2_EEvT0_PKT1_PKT3_PT2_l16rocsparse_order_: ; @_ZN9rocsparseL28csrmmnn_general_block_reduceILj1024Ell21rocsparse_complex_numIdES2_EEvT0_PKT1_PKT3_PT2_l16rocsparse_order_
; %bb.0:
	s_load_dwordx2 s[20:21], s[4:5], 0x0
	v_mov_b32_e32 v7, -1
	v_mov_b32_e32 v1, 0
	v_lshlrev_b32_e32 v2, 3, v0
	v_lshlrev_b32_e32 v14, 4, v0
	s_mov_b32 s7, 0
	v_mov_b32_e32 v8, v7
	v_mov_b32_e32 v3, v1
	;; [unrolled: 1-line block ×5, first 2 shown]
	ds_write_b64 v2, v[7:8] offset:16384
	s_mov_b32 s0, exec_lo
	ds_write_b128 v14, v[3:6]
	s_waitcnt lgkmcnt(0)
	s_barrier
	buffer_gl0_inv
	v_cmpx_gt_i64_e64 s[20:21], v[0:1]
	s_cbranch_execz .LBB14_50
; %bb.1:
	s_clause 0x1
	s_load_dwordx8 s[12:19], s[4:5], 0x8
	s_load_dword s24, s[4:5], 0x28
	s_lshl_b64 s[8:9], s[6:7], 4
	v_or_b32_e32 v15, 0x4000, v2
	v_lshlrev_b32_e32 v2, 4, v0
	v_lshlrev_b32_e32 v3, 3, v0
	v_cmp_ne_u32_e64 s0, 0, v0
	v_add_nc_u32_e32 v16, -16, v14
	v_cmp_lt_u32_e64 s1, 1, v0
	v_subrev_nc_u32_e32 v17, 32, v14
	v_cmp_lt_u32_e64 s2, 3, v0
	v_subrev_nc_u32_e32 v18, 64, v14
	v_cmp_lt_u32_e64 s3, 7, v0
	v_add_nc_u32_e32 v19, 0xffffff80, v14
	v_cmp_lt_u32_e64 s4, 15, v0
	v_add_nc_u32_e32 v20, 0xffffff00, v14
	v_cmp_lt_u32_e64 s5, 31, v0
	v_add_nc_u32_e32 v21, -8, v15
	v_add_nc_u32_e32 v22, -16, v15
	v_subrev_nc_u32_e32 v23, 32, v15
	s_waitcnt lgkmcnt(0)
	s_add_u32 s22, s16, s8
	s_addc_u32 s23, s17, s9
	s_cmp_lg_u32 s24, 1
	s_mul_i32 s25, s19, s6
	s_mul_hi_u32 s26, s18, s6
	s_cselect_b32 s24, -1, 0
	s_add_i32 s27, s26, s25
	s_mul_i32 s26, s18, s6
	s_mul_i32 s25, s21, s6
	s_lshl_b64 s[26:27], s[26:27], 4
	v_add_co_u32 v12, s12, s12, v3
	s_add_u32 s16, s16, s26
	s_mul_hi_u32 s26, s20, s6
	s_addc_u32 s17, s17, s27
	s_add_i32 s27, s26, s25
	s_mul_i32 s26, s20, s6
	v_subrev_nc_u32_e32 v24, 64, v15
	s_lshl_b64 s[26:27], s[26:27], 4
	v_add_nc_u32_e32 v25, 0xffffff80, v15
	s_add_u32 s14, s14, s26
	s_addc_u32 s15, s15, s27
	v_add_co_u32 v10, s14, s14, v2
	v_add_nc_u32_e32 v26, 0xffffff00, v15
	v_add_nc_u32_e32 v27, 0xfffffe00, v14
	v_cmp_lt_u32_e64 s8, 63, v0
	v_add_nc_u32_e32 v28, 0xfffffe00, v15
	v_add_nc_u32_e32 v29, 0xfffffc00, v14
	v_cmp_lt_u32_e64 s9, 0x7f, v0
	;; [unrolled: 3-line block ×4, first 2 shown]
	v_add_nc_u32_e32 v34, 0xfffff000, v15
	v_add_nc_u32_e32 v35, 0xffffe000, v14
	v_cmp_ne_u32_e64 s6, 0x3ff, v0
	v_add_co_ci_u32_e64 v11, null, s15, 0, s14
	v_add_co_ci_u32_e64 v13, null, s13, 0, s12
	s_branch .LBB14_3
.LBB14_2:                               ;   in Loop: Header=BB14_3 Depth=1
	s_or_b32 exec_lo, exec_lo, s12
	v_add_co_u32 v0, vcc_lo, 0x400, v0
	v_add_co_ci_u32_e64 v1, null, 0, v1, vcc_lo
	v_add_co_u32 v10, vcc_lo, 0x4000, v10
	v_add_co_ci_u32_e64 v11, null, 0, v11, vcc_lo
	v_cmp_le_i64_e32 vcc_lo, s[20:21], v[0:1]
	v_add_co_u32 v12, s12, 0x2000, v12
	v_add_co_ci_u32_e64 v13, null, 0, v13, s12
	s_waitcnt_vscnt null, 0x0
	s_or_b32 s7, vcc_lo, s7
	s_barrier
	buffer_gl0_inv
	s_andn2_b32 exec_lo, exec_lo, s7
	s_cbranch_execz .LBB14_50
.LBB14_3:                               ; =>This Inner Loop Header: Depth=1
	global_load_dwordx2 v[2:3], v[12:13], off
	global_load_dwordx4 v[36:39], v[10:11], off
	v_mov_b32_e32 v4, 0
	v_mov_b32_e32 v8, 0
	;; [unrolled: 1-line block ×6, first 2 shown]
	s_waitcnt vmcnt(1)
	ds_write_b64 v15, v[2:3]
	s_waitcnt vmcnt(0)
	ds_write2_b64 v14, v[36:37], v[38:39] offset1:1
	s_waitcnt lgkmcnt(0)
	s_barrier
	buffer_gl0_inv
	s_and_saveexec_b32 s12, s0
	s_cbranch_execz .LBB14_7
; %bb.4:                                ;   in Loop: Header=BB14_3 Depth=1
	ds_read2_b64 v[36:39], v21 offset1:1
	v_mov_b32_e32 v6, 0
	v_mov_b32_e32 v8, 0
	;; [unrolled: 1-line block ×4, first 2 shown]
	s_mov_b32 s13, exec_lo
	s_waitcnt lgkmcnt(0)
	v_cmpx_eq_u64_e64 v[38:39], v[36:37]
; %bb.5:                                ;   in Loop: Header=BB14_3 Depth=1
	ds_read_b128 v[6:9], v16
; %bb.6:                                ;   in Loop: Header=BB14_3 Depth=1
	s_or_b32 exec_lo, exec_lo, s13
.LBB14_7:                               ;   in Loop: Header=BB14_3 Depth=1
	s_or_b32 exec_lo, exec_lo, s12
	s_waitcnt lgkmcnt(0)
	s_barrier
	buffer_gl0_inv
	ds_read_b128 v[36:39], v14
	v_mov_b32_e32 v2, 0
	v_mov_b32_e32 v3, 0
	s_waitcnt lgkmcnt(0)
	v_add_f64 v[6:7], v[6:7], v[36:37]
	v_add_f64 v[8:9], v[8:9], v[38:39]
	ds_write_b128 v14, v[6:9]
	s_waitcnt lgkmcnt(0)
	s_barrier
	buffer_gl0_inv
	s_and_saveexec_b32 s12, s1
	s_cbranch_execz .LBB14_11
; %bb.8:                                ;   in Loop: Header=BB14_3 Depth=1
	ds_read_b64 v[4:5], v15
	ds_read_b64 v[6:7], v22
	v_mov_b32_e32 v2, 0
	v_mov_b32_e32 v3, 0
	s_waitcnt lgkmcnt(0)
	v_cmp_eq_u64_e32 vcc_lo, v[4:5], v[6:7]
	v_mov_b32_e32 v4, 0
	v_mov_b32_e32 v5, 0
	s_and_saveexec_b32 s13, vcc_lo
; %bb.9:                                ;   in Loop: Header=BB14_3 Depth=1
	ds_read_b128 v[2:5], v17
; %bb.10:                               ;   in Loop: Header=BB14_3 Depth=1
	s_or_b32 exec_lo, exec_lo, s13
.LBB14_11:                              ;   in Loop: Header=BB14_3 Depth=1
	s_or_b32 exec_lo, exec_lo, s12
	s_waitcnt lgkmcnt(0)
	s_barrier
	buffer_gl0_inv
	ds_read_b128 v[6:9], v14
	s_waitcnt lgkmcnt(0)
	v_add_f64 v[36:37], v[2:3], v[6:7]
	v_add_f64 v[38:39], v[4:5], v[8:9]
	v_mov_b32_e32 v4, 0
	v_mov_b32_e32 v8, 0
	;; [unrolled: 1-line block ×6, first 2 shown]
	ds_write_b128 v14, v[36:39]
	s_waitcnt lgkmcnt(0)
	s_barrier
	buffer_gl0_inv
	s_and_saveexec_b32 s12, s2
	s_cbranch_execz .LBB14_15
; %bb.12:                               ;   in Loop: Header=BB14_3 Depth=1
	ds_read_b64 v[2:3], v15
	ds_read_b64 v[8:9], v23
	v_mov_b32_e32 v6, 0
	v_mov_b32_e32 v7, 0
	s_waitcnt lgkmcnt(0)
	v_cmp_eq_u64_e32 vcc_lo, v[2:3], v[8:9]
	v_mov_b32_e32 v8, 0
	v_mov_b32_e32 v9, 0
	s_and_saveexec_b32 s13, vcc_lo
; %bb.13:                               ;   in Loop: Header=BB14_3 Depth=1
	ds_read_b128 v[6:9], v18
; %bb.14:                               ;   in Loop: Header=BB14_3 Depth=1
	s_or_b32 exec_lo, exec_lo, s13
.LBB14_15:                              ;   in Loop: Header=BB14_3 Depth=1
	s_or_b32 exec_lo, exec_lo, s12
	s_waitcnt lgkmcnt(0)
	s_barrier
	buffer_gl0_inv
	ds_read_b128 v[36:39], v14
	v_mov_b32_e32 v2, 0
	v_mov_b32_e32 v3, 0
	s_waitcnt lgkmcnt(0)
	v_add_f64 v[6:7], v[6:7], v[36:37]
	v_add_f64 v[8:9], v[8:9], v[38:39]
	ds_write_b128 v14, v[6:9]
	s_waitcnt lgkmcnt(0)
	s_barrier
	buffer_gl0_inv
	s_and_saveexec_b32 s12, s3
	s_cbranch_execz .LBB14_19
; %bb.16:                               ;   in Loop: Header=BB14_3 Depth=1
	ds_read_b64 v[4:5], v15
	ds_read_b64 v[6:7], v24
	v_mov_b32_e32 v2, 0
	v_mov_b32_e32 v3, 0
	s_waitcnt lgkmcnt(0)
	v_cmp_eq_u64_e32 vcc_lo, v[4:5], v[6:7]
	v_mov_b32_e32 v4, 0
	v_mov_b32_e32 v5, 0
	s_and_saveexec_b32 s13, vcc_lo
; %bb.17:                               ;   in Loop: Header=BB14_3 Depth=1
	ds_read_b128 v[2:5], v19
; %bb.18:                               ;   in Loop: Header=BB14_3 Depth=1
	s_or_b32 exec_lo, exec_lo, s13
.LBB14_19:                              ;   in Loop: Header=BB14_3 Depth=1
	s_or_b32 exec_lo, exec_lo, s12
	s_waitcnt lgkmcnt(0)
	s_barrier
	buffer_gl0_inv
	ds_read_b128 v[6:9], v14
	s_waitcnt lgkmcnt(0)
	v_add_f64 v[36:37], v[2:3], v[6:7]
	v_add_f64 v[38:39], v[4:5], v[8:9]
	v_mov_b32_e32 v4, 0
	v_mov_b32_e32 v8, 0
	;; [unrolled: 1-line block ×6, first 2 shown]
	ds_write_b128 v14, v[36:39]
	s_waitcnt lgkmcnt(0)
	s_barrier
	buffer_gl0_inv
	s_and_saveexec_b32 s12, s4
	s_cbranch_execz .LBB14_23
; %bb.20:                               ;   in Loop: Header=BB14_3 Depth=1
	ds_read_b64 v[2:3], v15
	ds_read_b64 v[8:9], v25
	v_mov_b32_e32 v6, 0
	v_mov_b32_e32 v7, 0
	s_waitcnt lgkmcnt(0)
	v_cmp_eq_u64_e32 vcc_lo, v[2:3], v[8:9]
	v_mov_b32_e32 v8, 0
	v_mov_b32_e32 v9, 0
	s_and_saveexec_b32 s13, vcc_lo
; %bb.21:                               ;   in Loop: Header=BB14_3 Depth=1
	ds_read_b128 v[6:9], v20
; %bb.22:                               ;   in Loop: Header=BB14_3 Depth=1
	s_or_b32 exec_lo, exec_lo, s13
.LBB14_23:                              ;   in Loop: Header=BB14_3 Depth=1
	s_or_b32 exec_lo, exec_lo, s12
	s_waitcnt lgkmcnt(0)
	s_barrier
	buffer_gl0_inv
	ds_read_b128 v[36:39], v14
	v_mov_b32_e32 v2, 0
	v_mov_b32_e32 v3, 0
	s_waitcnt lgkmcnt(0)
	v_add_f64 v[6:7], v[6:7], v[36:37]
	v_add_f64 v[8:9], v[8:9], v[38:39]
	ds_write_b128 v14, v[6:9]
	s_waitcnt lgkmcnt(0)
	s_barrier
	buffer_gl0_inv
	s_and_saveexec_b32 s12, s5
	s_cbranch_execz .LBB14_27
; %bb.24:                               ;   in Loop: Header=BB14_3 Depth=1
	ds_read_b64 v[4:5], v15
	ds_read_b64 v[6:7], v26
	v_mov_b32_e32 v2, 0
	v_mov_b32_e32 v3, 0
	s_waitcnt lgkmcnt(0)
	v_cmp_eq_u64_e32 vcc_lo, v[4:5], v[6:7]
	v_mov_b32_e32 v4, 0
	v_mov_b32_e32 v5, 0
	s_and_saveexec_b32 s13, vcc_lo
; %bb.25:                               ;   in Loop: Header=BB14_3 Depth=1
	ds_read_b128 v[2:5], v27
; %bb.26:                               ;   in Loop: Header=BB14_3 Depth=1
	s_or_b32 exec_lo, exec_lo, s13
.LBB14_27:                              ;   in Loop: Header=BB14_3 Depth=1
	s_or_b32 exec_lo, exec_lo, s12
	s_waitcnt lgkmcnt(0)
	s_barrier
	buffer_gl0_inv
	ds_read_b128 v[6:9], v14
	s_waitcnt lgkmcnt(0)
	v_add_f64 v[36:37], v[2:3], v[6:7]
	v_add_f64 v[38:39], v[4:5], v[8:9]
	v_mov_b32_e32 v4, 0
	v_mov_b32_e32 v8, 0
	;; [unrolled: 1-line block ×6, first 2 shown]
	ds_write_b128 v14, v[36:39]
	s_waitcnt lgkmcnt(0)
	s_barrier
	buffer_gl0_inv
	s_and_saveexec_b32 s12, s8
	s_cbranch_execz .LBB14_31
; %bb.28:                               ;   in Loop: Header=BB14_3 Depth=1
	ds_read_b64 v[2:3], v15
	ds_read_b64 v[8:9], v28
	v_mov_b32_e32 v6, 0
	v_mov_b32_e32 v7, 0
	s_waitcnt lgkmcnt(0)
	v_cmp_eq_u64_e32 vcc_lo, v[2:3], v[8:9]
	v_mov_b32_e32 v8, 0
	v_mov_b32_e32 v9, 0
	s_and_saveexec_b32 s13, vcc_lo
; %bb.29:                               ;   in Loop: Header=BB14_3 Depth=1
	ds_read_b128 v[6:9], v29
; %bb.30:                               ;   in Loop: Header=BB14_3 Depth=1
	s_or_b32 exec_lo, exec_lo, s13
.LBB14_31:                              ;   in Loop: Header=BB14_3 Depth=1
	s_or_b32 exec_lo, exec_lo, s12
	s_waitcnt lgkmcnt(0)
	s_barrier
	buffer_gl0_inv
	ds_read_b128 v[36:39], v14
	v_mov_b32_e32 v2, 0
	v_mov_b32_e32 v3, 0
	s_waitcnt lgkmcnt(0)
	v_add_f64 v[6:7], v[6:7], v[36:37]
	v_add_f64 v[8:9], v[8:9], v[38:39]
	ds_write_b128 v14, v[6:9]
	s_waitcnt lgkmcnt(0)
	s_barrier
	buffer_gl0_inv
	s_and_saveexec_b32 s12, s9
	s_cbranch_execz .LBB14_35
; %bb.32:                               ;   in Loop: Header=BB14_3 Depth=1
	ds_read_b64 v[4:5], v15
	ds_read_b64 v[6:7], v30
	v_mov_b32_e32 v2, 0
	v_mov_b32_e32 v3, 0
	s_waitcnt lgkmcnt(0)
	v_cmp_eq_u64_e32 vcc_lo, v[4:5], v[6:7]
	v_mov_b32_e32 v4, 0
	v_mov_b32_e32 v5, 0
	s_and_saveexec_b32 s13, vcc_lo
; %bb.33:                               ;   in Loop: Header=BB14_3 Depth=1
	ds_read_b128 v[2:5], v31
; %bb.34:                               ;   in Loop: Header=BB14_3 Depth=1
	s_or_b32 exec_lo, exec_lo, s13
.LBB14_35:                              ;   in Loop: Header=BB14_3 Depth=1
	s_or_b32 exec_lo, exec_lo, s12
	s_waitcnt lgkmcnt(0)
	s_barrier
	buffer_gl0_inv
	ds_read_b128 v[6:9], v14
	s_waitcnt lgkmcnt(0)
	v_add_f64 v[36:37], v[2:3], v[6:7]
	v_add_f64 v[38:39], v[4:5], v[8:9]
	v_mov_b32_e32 v4, 0
	v_mov_b32_e32 v8, 0
	;; [unrolled: 1-line block ×6, first 2 shown]
	ds_write_b128 v14, v[36:39]
	s_waitcnt lgkmcnt(0)
	s_barrier
	buffer_gl0_inv
	s_and_saveexec_b32 s12, s10
	s_cbranch_execz .LBB14_39
; %bb.36:                               ;   in Loop: Header=BB14_3 Depth=1
	ds_read_b64 v[2:3], v15
	ds_read_b64 v[8:9], v32
	v_mov_b32_e32 v6, 0
	v_mov_b32_e32 v7, 0
	s_waitcnt lgkmcnt(0)
	v_cmp_eq_u64_e32 vcc_lo, v[2:3], v[8:9]
	v_mov_b32_e32 v8, 0
	v_mov_b32_e32 v9, 0
	s_and_saveexec_b32 s13, vcc_lo
; %bb.37:                               ;   in Loop: Header=BB14_3 Depth=1
	ds_read_b128 v[6:9], v33
; %bb.38:                               ;   in Loop: Header=BB14_3 Depth=1
	s_or_b32 exec_lo, exec_lo, s13
.LBB14_39:                              ;   in Loop: Header=BB14_3 Depth=1
	s_or_b32 exec_lo, exec_lo, s12
	s_waitcnt lgkmcnt(0)
	s_barrier
	buffer_gl0_inv
	ds_read_b128 v[36:39], v14
	v_mov_b32_e32 v2, 0
	v_mov_b32_e32 v3, 0
	s_waitcnt lgkmcnt(0)
	v_add_f64 v[6:7], v[6:7], v[36:37]
	v_add_f64 v[8:9], v[8:9], v[38:39]
	ds_write_b128 v14, v[6:9]
	s_waitcnt lgkmcnt(0)
	s_barrier
	buffer_gl0_inv
	s_and_saveexec_b32 s12, s11
	s_cbranch_execz .LBB14_43
; %bb.40:                               ;   in Loop: Header=BB14_3 Depth=1
	ds_read_b64 v[4:5], v15
	ds_read_b64 v[6:7], v34
	v_mov_b32_e32 v2, 0
	v_mov_b32_e32 v3, 0
	s_waitcnt lgkmcnt(0)
	v_cmp_eq_u64_e32 vcc_lo, v[4:5], v[6:7]
	v_mov_b32_e32 v4, 0
	v_mov_b32_e32 v5, 0
	s_and_saveexec_b32 s13, vcc_lo
; %bb.41:                               ;   in Loop: Header=BB14_3 Depth=1
	ds_read_b128 v[2:5], v35
; %bb.42:                               ;   in Loop: Header=BB14_3 Depth=1
	s_or_b32 exec_lo, exec_lo, s13
.LBB14_43:                              ;   in Loop: Header=BB14_3 Depth=1
	s_or_b32 exec_lo, exec_lo, s12
	s_waitcnt lgkmcnt(0)
	s_barrier
	buffer_gl0_inv
	ds_read_b128 v[6:9], v14
	s_waitcnt lgkmcnt(0)
	v_add_f64 v[2:3], v[2:3], v[6:7]
	v_add_f64 v[4:5], v[4:5], v[8:9]
	ds_write_b128 v14, v[2:5]
	s_waitcnt lgkmcnt(0)
	s_barrier
	buffer_gl0_inv
	ds_read_b64 v[2:3], v15
	v_mov_b32_e32 v4, -1
	v_mov_b32_e32 v5, -1
	s_and_saveexec_b32 s12, s6
; %bb.44:                               ;   in Loop: Header=BB14_3 Depth=1
	ds_read_b64 v[4:5], v15 offset:8
; %bb.45:                               ;   in Loop: Header=BB14_3 Depth=1
	s_or_b32 exec_lo, exec_lo, s12
	s_waitcnt lgkmcnt(0)
	v_cmp_ne_u64_e32 vcc_lo, v[2:3], v[4:5]
	v_cmp_lt_i64_e64 s12, -1, v[2:3]
	s_and_b32 s13, s12, vcc_lo
	s_and_saveexec_b32 s12, s13
	s_cbranch_execz .LBB14_2
; %bb.46:                               ;   in Loop: Header=BB14_3 Depth=1
	s_and_b32 vcc_lo, exec_lo, s24
	s_mov_b32 s13, -1
	s_cbranch_vccz .LBB14_48
; %bb.47:                               ;   in Loop: Header=BB14_3 Depth=1
	v_mul_lo_u32 v6, v3, s18
	v_mul_lo_u32 v7, v2, s19
	v_mad_u64_u32 v[4:5], null, v2, s18, 0
	ds_read_b128 v[36:39], v14
	s_mov_b32 s13, 0
	v_add3_u32 v5, v5, v7, v6
	v_lshlrev_b64 v[4:5], 4, v[4:5]
	v_add_co_u32 v8, vcc_lo, s22, v4
	v_add_co_ci_u32_e64 v9, null, s23, v5, vcc_lo
	global_load_dwordx4 v[4:7], v[8:9], off
	s_waitcnt vmcnt(0) lgkmcnt(0)
	v_add_f64 v[4:5], v[36:37], v[4:5]
	v_add_f64 v[6:7], v[38:39], v[6:7]
	global_store_dwordx4 v[8:9], v[4:7], off
.LBB14_48:                              ;   in Loop: Header=BB14_3 Depth=1
	s_andn2_b32 vcc_lo, exec_lo, s13
	s_cbranch_vccnz .LBB14_2
; %bb.49:                               ;   in Loop: Header=BB14_3 Depth=1
	v_lshlrev_b64 v[2:3], 4, v[2:3]
	ds_read_b128 v[6:9], v14
	v_add_co_u32 v36, vcc_lo, s16, v2
	v_add_co_ci_u32_e64 v37, null, s17, v3, vcc_lo
	global_load_dwordx4 v[2:5], v[36:37], off
	s_waitcnt vmcnt(0) lgkmcnt(0)
	v_add_f64 v[2:3], v[6:7], v[2:3]
	v_add_f64 v[4:5], v[8:9], v[4:5]
	global_store_dwordx4 v[36:37], v[2:5], off
	s_branch .LBB14_2
.LBB14_50:
	s_endpgm
	.section	.rodata,"a",@progbits
	.p2align	6, 0x0
	.amdhsa_kernel _ZN9rocsparseL28csrmmnn_general_block_reduceILj1024Ell21rocsparse_complex_numIdES2_EEvT0_PKT1_PKT3_PT2_l16rocsparse_order_
		.amdhsa_group_segment_fixed_size 24576
		.amdhsa_private_segment_fixed_size 0
		.amdhsa_kernarg_size 44
		.amdhsa_user_sgpr_count 6
		.amdhsa_user_sgpr_private_segment_buffer 1
		.amdhsa_user_sgpr_dispatch_ptr 0
		.amdhsa_user_sgpr_queue_ptr 0
		.amdhsa_user_sgpr_kernarg_segment_ptr 1
		.amdhsa_user_sgpr_dispatch_id 0
		.amdhsa_user_sgpr_flat_scratch_init 0
		.amdhsa_user_sgpr_private_segment_size 0
		.amdhsa_wavefront_size32 1
		.amdhsa_uses_dynamic_stack 0
		.amdhsa_system_sgpr_private_segment_wavefront_offset 0
		.amdhsa_system_sgpr_workgroup_id_x 1
		.amdhsa_system_sgpr_workgroup_id_y 0
		.amdhsa_system_sgpr_workgroup_id_z 0
		.amdhsa_system_sgpr_workgroup_info 0
		.amdhsa_system_vgpr_workitem_id 0
		.amdhsa_next_free_vgpr 40
		.amdhsa_next_free_sgpr 28
		.amdhsa_reserve_vcc 1
		.amdhsa_reserve_flat_scratch 0
		.amdhsa_float_round_mode_32 0
		.amdhsa_float_round_mode_16_64 0
		.amdhsa_float_denorm_mode_32 3
		.amdhsa_float_denorm_mode_16_64 3
		.amdhsa_dx10_clamp 1
		.amdhsa_ieee_mode 1
		.amdhsa_fp16_overflow 0
		.amdhsa_workgroup_processor_mode 1
		.amdhsa_memory_ordered 1
		.amdhsa_forward_progress 1
		.amdhsa_shared_vgpr_count 0
		.amdhsa_exception_fp_ieee_invalid_op 0
		.amdhsa_exception_fp_denorm_src 0
		.amdhsa_exception_fp_ieee_div_zero 0
		.amdhsa_exception_fp_ieee_overflow 0
		.amdhsa_exception_fp_ieee_underflow 0
		.amdhsa_exception_fp_ieee_inexact 0
		.amdhsa_exception_int_div_zero 0
	.end_amdhsa_kernel
	.section	.text._ZN9rocsparseL28csrmmnn_general_block_reduceILj1024Ell21rocsparse_complex_numIdES2_EEvT0_PKT1_PKT3_PT2_l16rocsparse_order_,"axG",@progbits,_ZN9rocsparseL28csrmmnn_general_block_reduceILj1024Ell21rocsparse_complex_numIdES2_EEvT0_PKT1_PKT3_PT2_l16rocsparse_order_,comdat
.Lfunc_end14:
	.size	_ZN9rocsparseL28csrmmnn_general_block_reduceILj1024Ell21rocsparse_complex_numIdES2_EEvT0_PKT1_PKT3_PT2_l16rocsparse_order_, .Lfunc_end14-_ZN9rocsparseL28csrmmnn_general_block_reduceILj1024Ell21rocsparse_complex_numIdES2_EEvT0_PKT1_PKT3_PT2_l16rocsparse_order_
                                        ; -- End function
	.set _ZN9rocsparseL28csrmmnn_general_block_reduceILj1024Ell21rocsparse_complex_numIdES2_EEvT0_PKT1_PKT3_PT2_l16rocsparse_order_.num_vgpr, 40
	.set _ZN9rocsparseL28csrmmnn_general_block_reduceILj1024Ell21rocsparse_complex_numIdES2_EEvT0_PKT1_PKT3_PT2_l16rocsparse_order_.num_agpr, 0
	.set _ZN9rocsparseL28csrmmnn_general_block_reduceILj1024Ell21rocsparse_complex_numIdES2_EEvT0_PKT1_PKT3_PT2_l16rocsparse_order_.numbered_sgpr, 28
	.set _ZN9rocsparseL28csrmmnn_general_block_reduceILj1024Ell21rocsparse_complex_numIdES2_EEvT0_PKT1_PKT3_PT2_l16rocsparse_order_.num_named_barrier, 0
	.set _ZN9rocsparseL28csrmmnn_general_block_reduceILj1024Ell21rocsparse_complex_numIdES2_EEvT0_PKT1_PKT3_PT2_l16rocsparse_order_.private_seg_size, 0
	.set _ZN9rocsparseL28csrmmnn_general_block_reduceILj1024Ell21rocsparse_complex_numIdES2_EEvT0_PKT1_PKT3_PT2_l16rocsparse_order_.uses_vcc, 1
	.set _ZN9rocsparseL28csrmmnn_general_block_reduceILj1024Ell21rocsparse_complex_numIdES2_EEvT0_PKT1_PKT3_PT2_l16rocsparse_order_.uses_flat_scratch, 0
	.set _ZN9rocsparseL28csrmmnn_general_block_reduceILj1024Ell21rocsparse_complex_numIdES2_EEvT0_PKT1_PKT3_PT2_l16rocsparse_order_.has_dyn_sized_stack, 0
	.set _ZN9rocsparseL28csrmmnn_general_block_reduceILj1024Ell21rocsparse_complex_numIdES2_EEvT0_PKT1_PKT3_PT2_l16rocsparse_order_.has_recursion, 0
	.set _ZN9rocsparseL28csrmmnn_general_block_reduceILj1024Ell21rocsparse_complex_numIdES2_EEvT0_PKT1_PKT3_PT2_l16rocsparse_order_.has_indirect_call, 0
	.section	.AMDGPU.csdata,"",@progbits
; Kernel info:
; codeLenInByte = 2412
; TotalNumSgprs: 30
; NumVgprs: 40
; ScratchSize: 0
; MemoryBound: 0
; FloatMode: 240
; IeeeMode: 1
; LDSByteSize: 24576 bytes/workgroup (compile time only)
; SGPRBlocks: 0
; VGPRBlocks: 4
; NumSGPRsForWavesPerEU: 30
; NumVGPRsForWavesPerEU: 40
; Occupancy: 16
; WaveLimiterHint : 0
; COMPUTE_PGM_RSRC2:SCRATCH_EN: 0
; COMPUTE_PGM_RSRC2:USER_SGPR: 6
; COMPUTE_PGM_RSRC2:TRAP_HANDLER: 0
; COMPUTE_PGM_RSRC2:TGID_X_EN: 1
; COMPUTE_PGM_RSRC2:TGID_Y_EN: 0
; COMPUTE_PGM_RSRC2:TGID_Z_EN: 0
; COMPUTE_PGM_RSRC2:TIDIG_COMP_CNT: 0
	.section	.text._ZN9rocsparseL28csrmmnn_general_block_reduceILj1024EiiiiEEvT0_PKT1_PKT3_PT2_l16rocsparse_order_,"axG",@progbits,_ZN9rocsparseL28csrmmnn_general_block_reduceILj1024EiiiiEEvT0_PKT1_PKT3_PT2_l16rocsparse_order_,comdat
	.globl	_ZN9rocsparseL28csrmmnn_general_block_reduceILj1024EiiiiEEvT0_PKT1_PKT3_PT2_l16rocsparse_order_ ; -- Begin function _ZN9rocsparseL28csrmmnn_general_block_reduceILj1024EiiiiEEvT0_PKT1_PKT3_PT2_l16rocsparse_order_
	.p2align	8
	.type	_ZN9rocsparseL28csrmmnn_general_block_reduceILj1024EiiiiEEvT0_PKT1_PKT3_PT2_l16rocsparse_order_,@function
_ZN9rocsparseL28csrmmnn_general_block_reduceILj1024EiiiiEEvT0_PKT1_PKT3_PT2_l16rocsparse_order_: ; @_ZN9rocsparseL28csrmmnn_general_block_reduceILj1024EiiiiEEvT0_PKT1_PKT3_PT2_l16rocsparse_order_
; %bb.0:
	s_load_dword s20, s[4:5], 0x0
	v_lshlrev_b32_e32 v3, 2, v0
	v_mov_b32_e32 v1, -1
	v_mov_b32_e32 v2, 0
	s_mov_b32 s0, exec_lo
	ds_write2st64_b32 v3, v1, v2 offset1:16
	s_waitcnt lgkmcnt(0)
	s_barrier
	buffer_gl0_inv
	v_cmpx_gt_i32_e64 s20, v0
	s_cbranch_execz .LBB15_50
; %bb.1:
	s_clause 0x1
	s_load_dword s7, s[4:5], 0x28
	s_load_dwordx8 s[12:19], s[4:5], 0x8
	v_or_b32_e32 v4, 0x1000, v3
	s_mul_i32 s21, s20, s6
	v_cmp_ne_u32_e64 s0, 0, v0
	v_add_nc_u32_e32 v5, -4, v3
	v_cmp_lt_u32_e64 s1, 1, v0
	v_add_nc_u32_e32 v6, -4, v4
	v_add_nc_u32_e32 v7, -8, v3
	;; [unrolled: 1-line block ×3, first 2 shown]
	v_cmp_lt_u32_e64 s2, 3, v0
	v_add_nc_u32_e32 v9, -16, v3
	v_add_nc_u32_e32 v10, -16, v4
	v_cmp_lt_u32_e64 s3, 7, v0
	v_subrev_nc_u32_e32 v11, 32, v3
	v_subrev_nc_u32_e32 v12, 32, v4
	v_cmp_lt_u32_e64 s4, 15, v0
	v_subrev_nc_u32_e32 v13, 64, v3
	v_subrev_nc_u32_e32 v14, 64, v4
	v_cmp_lt_u32_e64 s5, 31, v0
	s_waitcnt lgkmcnt(0)
	s_cmp_lg_u32 s7, 1
	s_mul_hi_u32 s26, s18, s6
	s_cselect_b32 s22, -1, 0
	s_ashr_i32 s7, s6, 31
	v_add_nc_u32_e32 v15, 0xffffff80, v3
	s_lshl_b64 s[24:25], s[6:7], 2
	s_mul_i32 s7, s18, s7
	s_add_u32 s23, s16, s24
	s_addc_u32 s24, s17, s25
	s_add_i32 s7, s26, s7
	s_mul_i32 s25, s19, s6
	s_mul_i32 s26, s18, s6
	s_add_i32 s27, s7, s25
	v_add_nc_u32_e32 v16, 0xffffff80, v4
	v_cmp_lt_u32_e64 s8, 63, v0
	v_add_nc_u32_e32 v17, 0xffffff00, v3
	v_add_nc_u32_e32 v18, 0xffffff00, v4
	v_cmp_lt_u32_e64 s9, 0x7f, v0
	v_add_nc_u32_e32 v19, 0xfffffe00, v3
	;; [unrolled: 3-line block ×4, first 2 shown]
	v_add_nc_u32_e32 v24, 0xfffff800, v4
	v_cmp_ne_u32_e64 s6, 0x3ff, v0
	s_lshl_b64 s[26:27], s[26:27], 2
	s_mov_b32 s25, 0
	s_add_u32 s16, s16, s26
	s_addc_u32 s17, s17, s27
	s_branch .LBB15_3
.LBB15_2:                               ;   in Loop: Header=BB15_3 Depth=1
	s_or_b32 exec_lo, exec_lo, s7
	v_add_nc_u32_e32 v0, 0x400, v0
	s_waitcnt_vscnt null, 0x0
	s_barrier
	buffer_gl0_inv
	v_cmp_le_i32_e32 vcc_lo, s20, v0
	s_or_b32 s25, vcc_lo, s25
	s_andn2_b32 exec_lo, exec_lo, s25
	s_cbranch_execz .LBB15_50
.LBB15_3:                               ; =>This Inner Loop Header: Depth=1
	v_add_nc_u32_e32 v25, s21, v0
	v_ashrrev_i32_e32 v1, 31, v0
	v_ashrrev_i32_e32 v26, 31, v25
	v_lshlrev_b64 v[27:28], 2, v[0:1]
	v_mov_b32_e32 v1, 0
	v_lshlrev_b64 v[25:26], 2, v[25:26]
	v_add_co_u32 v27, vcc_lo, s12, v27
	v_add_co_ci_u32_e64 v28, null, s13, v28, vcc_lo
	v_add_co_u32 v25, vcc_lo, s14, v25
	v_add_co_ci_u32_e64 v26, null, s15, v26, vcc_lo
	global_load_dword v27, v[27:28], off
	global_load_dword v26, v[25:26], off
	v_mov_b32_e32 v25, 0
	s_waitcnt vmcnt(1)
	ds_write_b32 v3, v27
	s_waitcnt vmcnt(0)
	ds_write_b32 v4, v26
	s_waitcnt lgkmcnt(0)
	s_barrier
	buffer_gl0_inv
	s_and_saveexec_b32 s7, s0
	s_cbranch_execz .LBB15_7
; %bb.4:                                ;   in Loop: Header=BB15_3 Depth=1
	ds_read2_b32 v[25:26], v5 offset1:1
	s_waitcnt lgkmcnt(0)
	v_cmp_eq_u32_e32 vcc_lo, v26, v25
	v_mov_b32_e32 v25, 0
	s_and_saveexec_b32 s26, vcc_lo
; %bb.5:                                ;   in Loop: Header=BB15_3 Depth=1
	ds_read_b32 v25, v6
; %bb.6:                                ;   in Loop: Header=BB15_3 Depth=1
	s_or_b32 exec_lo, exec_lo, s26
.LBB15_7:                               ;   in Loop: Header=BB15_3 Depth=1
	s_or_b32 exec_lo, exec_lo, s7
	s_waitcnt lgkmcnt(0)
	s_barrier
	buffer_gl0_inv
	ds_read_b32 v26, v4
	s_waitcnt lgkmcnt(0)
	v_add_nc_u32_e32 v25, v26, v25
	ds_write_b32 v4, v25
	s_waitcnt lgkmcnt(0)
	s_barrier
	buffer_gl0_inv
	s_and_saveexec_b32 s7, s1
	s_cbranch_execz .LBB15_11
; %bb.8:                                ;   in Loop: Header=BB15_3 Depth=1
	ds_read_b32 v1, v3
	ds_read_b32 v25, v7
	s_waitcnt lgkmcnt(0)
	v_cmp_eq_u32_e32 vcc_lo, v1, v25
	v_mov_b32_e32 v1, 0
	s_and_saveexec_b32 s26, vcc_lo
; %bb.9:                                ;   in Loop: Header=BB15_3 Depth=1
	ds_read_b32 v1, v8
; %bb.10:                               ;   in Loop: Header=BB15_3 Depth=1
	s_or_b32 exec_lo, exec_lo, s26
.LBB15_11:                              ;   in Loop: Header=BB15_3 Depth=1
	s_or_b32 exec_lo, exec_lo, s7
	s_waitcnt lgkmcnt(0)
	s_barrier
	buffer_gl0_inv
	ds_read_b32 v25, v4
	s_waitcnt lgkmcnt(0)
	v_add_nc_u32_e32 v26, v25, v1
	v_mov_b32_e32 v1, 0
	v_mov_b32_e32 v25, 0
	ds_write_b32 v4, v26
	s_waitcnt lgkmcnt(0)
	s_barrier
	buffer_gl0_inv
	s_and_saveexec_b32 s7, s2
	s_cbranch_execz .LBB15_15
; %bb.12:                               ;   in Loop: Header=BB15_3 Depth=1
	ds_read_b32 v25, v3
	ds_read_b32 v26, v9
	s_waitcnt lgkmcnt(0)
	v_cmp_eq_u32_e32 vcc_lo, v25, v26
	v_mov_b32_e32 v25, 0
	s_and_saveexec_b32 s26, vcc_lo
; %bb.13:                               ;   in Loop: Header=BB15_3 Depth=1
	ds_read_b32 v25, v10
; %bb.14:                               ;   in Loop: Header=BB15_3 Depth=1
	s_or_b32 exec_lo, exec_lo, s26
.LBB15_15:                              ;   in Loop: Header=BB15_3 Depth=1
	s_or_b32 exec_lo, exec_lo, s7
	s_waitcnt lgkmcnt(0)
	s_barrier
	buffer_gl0_inv
	ds_read_b32 v26, v4
	s_waitcnt lgkmcnt(0)
	v_add_nc_u32_e32 v25, v26, v25
	ds_write_b32 v4, v25
	s_waitcnt lgkmcnt(0)
	s_barrier
	buffer_gl0_inv
	s_and_saveexec_b32 s7, s3
	s_cbranch_execz .LBB15_19
; %bb.16:                               ;   in Loop: Header=BB15_3 Depth=1
	ds_read_b32 v1, v3
	ds_read_b32 v25, v11
	s_waitcnt lgkmcnt(0)
	v_cmp_eq_u32_e32 vcc_lo, v1, v25
	v_mov_b32_e32 v1, 0
	s_and_saveexec_b32 s26, vcc_lo
; %bb.17:                               ;   in Loop: Header=BB15_3 Depth=1
	ds_read_b32 v1, v12
; %bb.18:                               ;   in Loop: Header=BB15_3 Depth=1
	s_or_b32 exec_lo, exec_lo, s26
.LBB15_19:                              ;   in Loop: Header=BB15_3 Depth=1
	s_or_b32 exec_lo, exec_lo, s7
	s_waitcnt lgkmcnt(0)
	s_barrier
	buffer_gl0_inv
	ds_read_b32 v25, v4
	s_waitcnt lgkmcnt(0)
	v_add_nc_u32_e32 v26, v25, v1
	v_mov_b32_e32 v1, 0
	v_mov_b32_e32 v25, 0
	ds_write_b32 v4, v26
	s_waitcnt lgkmcnt(0)
	s_barrier
	buffer_gl0_inv
	s_and_saveexec_b32 s7, s4
	s_cbranch_execz .LBB15_23
; %bb.20:                               ;   in Loop: Header=BB15_3 Depth=1
	ds_read_b32 v25, v3
	ds_read_b32 v26, v13
	s_waitcnt lgkmcnt(0)
	v_cmp_eq_u32_e32 vcc_lo, v25, v26
	v_mov_b32_e32 v25, 0
	s_and_saveexec_b32 s26, vcc_lo
; %bb.21:                               ;   in Loop: Header=BB15_3 Depth=1
	ds_read_b32 v25, v14
; %bb.22:                               ;   in Loop: Header=BB15_3 Depth=1
	s_or_b32 exec_lo, exec_lo, s26
.LBB15_23:                              ;   in Loop: Header=BB15_3 Depth=1
	s_or_b32 exec_lo, exec_lo, s7
	s_waitcnt lgkmcnt(0)
	s_barrier
	buffer_gl0_inv
	ds_read_b32 v26, v4
	s_waitcnt lgkmcnt(0)
	v_add_nc_u32_e32 v25, v26, v25
	ds_write_b32 v4, v25
	s_waitcnt lgkmcnt(0)
	s_barrier
	buffer_gl0_inv
	s_and_saveexec_b32 s7, s5
	s_cbranch_execz .LBB15_27
; %bb.24:                               ;   in Loop: Header=BB15_3 Depth=1
	ds_read_b32 v1, v3
	ds_read_b32 v25, v15
	s_waitcnt lgkmcnt(0)
	v_cmp_eq_u32_e32 vcc_lo, v1, v25
	v_mov_b32_e32 v1, 0
	s_and_saveexec_b32 s26, vcc_lo
; %bb.25:                               ;   in Loop: Header=BB15_3 Depth=1
	ds_read_b32 v1, v16
; %bb.26:                               ;   in Loop: Header=BB15_3 Depth=1
	s_or_b32 exec_lo, exec_lo, s26
.LBB15_27:                              ;   in Loop: Header=BB15_3 Depth=1
	;; [unrolled: 52-line block ×4, first 2 shown]
	s_or_b32 exec_lo, exec_lo, s7
	s_waitcnt lgkmcnt(0)
	s_barrier
	buffer_gl0_inv
	ds_read_b32 v25, v4
	s_waitcnt lgkmcnt(0)
	v_add_nc_u32_e32 v1, v25, v1
	v_mov_b32_e32 v25, -1
	ds_write_b32 v4, v1
	s_waitcnt lgkmcnt(0)
	s_barrier
	buffer_gl0_inv
	ds_read_b32 v1, v3
	s_and_saveexec_b32 s7, s6
; %bb.44:                               ;   in Loop: Header=BB15_3 Depth=1
	ds_read_b32 v25, v3 offset:4
; %bb.45:                               ;   in Loop: Header=BB15_3 Depth=1
	s_or_b32 exec_lo, exec_lo, s7
	s_waitcnt lgkmcnt(0)
	v_cmp_ne_u32_e32 vcc_lo, v1, v25
	v_cmp_lt_i32_e64 s7, -1, v1
	s_and_b32 s26, s7, vcc_lo
	s_and_saveexec_b32 s7, s26
	s_cbranch_execz .LBB15_2
; %bb.46:                               ;   in Loop: Header=BB15_3 Depth=1
	s_and_b32 vcc_lo, exec_lo, s22
	s_mov_b32 s26, -1
	s_cbranch_vccz .LBB15_48
; %bb.47:                               ;   in Loop: Header=BB15_3 Depth=1
	v_mad_u64_u32 v[25:26], null, s18, v1, 0
	ds_read_b32 v28, v4
	s_mov_b32 s26, 0
	v_mad_u64_u32 v[26:27], null, s19, v1, v[26:27]
	v_lshlrev_b64 v[25:26], 2, v[25:26]
	v_add_co_u32 v25, vcc_lo, s23, v25
	v_add_co_ci_u32_e64 v26, null, s24, v26, vcc_lo
	global_load_dword v27, v[25:26], off
	s_waitcnt vmcnt(0) lgkmcnt(0)
	v_add_nc_u32_e32 v27, v28, v27
	global_store_dword v[25:26], v27, off
.LBB15_48:                              ;   in Loop: Header=BB15_3 Depth=1
	s_andn2_b32 vcc_lo, exec_lo, s26
	s_cbranch_vccnz .LBB15_2
; %bb.49:                               ;   in Loop: Header=BB15_3 Depth=1
	v_lshlrev_b64 v[25:26], 2, v[1:2]
	ds_read_b32 v27, v4
	v_add_co_u32 v25, vcc_lo, s16, v25
	v_add_co_ci_u32_e64 v26, null, s17, v26, vcc_lo
	global_load_dword v1, v[25:26], off
	s_waitcnt vmcnt(0) lgkmcnt(0)
	v_add_nc_u32_e32 v1, v27, v1
	global_store_dword v[25:26], v1, off
	s_branch .LBB15_2
.LBB15_50:
	s_endpgm
	.section	.rodata,"a",@progbits
	.p2align	6, 0x0
	.amdhsa_kernel _ZN9rocsparseL28csrmmnn_general_block_reduceILj1024EiiiiEEvT0_PKT1_PKT3_PT2_l16rocsparse_order_
		.amdhsa_group_segment_fixed_size 8192
		.amdhsa_private_segment_fixed_size 0
		.amdhsa_kernarg_size 44
		.amdhsa_user_sgpr_count 6
		.amdhsa_user_sgpr_private_segment_buffer 1
		.amdhsa_user_sgpr_dispatch_ptr 0
		.amdhsa_user_sgpr_queue_ptr 0
		.amdhsa_user_sgpr_kernarg_segment_ptr 1
		.amdhsa_user_sgpr_dispatch_id 0
		.amdhsa_user_sgpr_flat_scratch_init 0
		.amdhsa_user_sgpr_private_segment_size 0
		.amdhsa_wavefront_size32 1
		.amdhsa_uses_dynamic_stack 0
		.amdhsa_system_sgpr_private_segment_wavefront_offset 0
		.amdhsa_system_sgpr_workgroup_id_x 1
		.amdhsa_system_sgpr_workgroup_id_y 0
		.amdhsa_system_sgpr_workgroup_id_z 0
		.amdhsa_system_sgpr_workgroup_info 0
		.amdhsa_system_vgpr_workitem_id 0
		.amdhsa_next_free_vgpr 29
		.amdhsa_next_free_sgpr 28
		.amdhsa_reserve_vcc 1
		.amdhsa_reserve_flat_scratch 0
		.amdhsa_float_round_mode_32 0
		.amdhsa_float_round_mode_16_64 0
		.amdhsa_float_denorm_mode_32 3
		.amdhsa_float_denorm_mode_16_64 3
		.amdhsa_dx10_clamp 1
		.amdhsa_ieee_mode 1
		.amdhsa_fp16_overflow 0
		.amdhsa_workgroup_processor_mode 1
		.amdhsa_memory_ordered 1
		.amdhsa_forward_progress 1
		.amdhsa_shared_vgpr_count 0
		.amdhsa_exception_fp_ieee_invalid_op 0
		.amdhsa_exception_fp_denorm_src 0
		.amdhsa_exception_fp_ieee_div_zero 0
		.amdhsa_exception_fp_ieee_overflow 0
		.amdhsa_exception_fp_ieee_underflow 0
		.amdhsa_exception_fp_ieee_inexact 0
		.amdhsa_exception_int_div_zero 0
	.end_amdhsa_kernel
	.section	.text._ZN9rocsparseL28csrmmnn_general_block_reduceILj1024EiiiiEEvT0_PKT1_PKT3_PT2_l16rocsparse_order_,"axG",@progbits,_ZN9rocsparseL28csrmmnn_general_block_reduceILj1024EiiiiEEvT0_PKT1_PKT3_PT2_l16rocsparse_order_,comdat
.Lfunc_end15:
	.size	_ZN9rocsparseL28csrmmnn_general_block_reduceILj1024EiiiiEEvT0_PKT1_PKT3_PT2_l16rocsparse_order_, .Lfunc_end15-_ZN9rocsparseL28csrmmnn_general_block_reduceILj1024EiiiiEEvT0_PKT1_PKT3_PT2_l16rocsparse_order_
                                        ; -- End function
	.set _ZN9rocsparseL28csrmmnn_general_block_reduceILj1024EiiiiEEvT0_PKT1_PKT3_PT2_l16rocsparse_order_.num_vgpr, 29
	.set _ZN9rocsparseL28csrmmnn_general_block_reduceILj1024EiiiiEEvT0_PKT1_PKT3_PT2_l16rocsparse_order_.num_agpr, 0
	.set _ZN9rocsparseL28csrmmnn_general_block_reduceILj1024EiiiiEEvT0_PKT1_PKT3_PT2_l16rocsparse_order_.numbered_sgpr, 28
	.set _ZN9rocsparseL28csrmmnn_general_block_reduceILj1024EiiiiEEvT0_PKT1_PKT3_PT2_l16rocsparse_order_.num_named_barrier, 0
	.set _ZN9rocsparseL28csrmmnn_general_block_reduceILj1024EiiiiEEvT0_PKT1_PKT3_PT2_l16rocsparse_order_.private_seg_size, 0
	.set _ZN9rocsparseL28csrmmnn_general_block_reduceILj1024EiiiiEEvT0_PKT1_PKT3_PT2_l16rocsparse_order_.uses_vcc, 1
	.set _ZN9rocsparseL28csrmmnn_general_block_reduceILj1024EiiiiEEvT0_PKT1_PKT3_PT2_l16rocsparse_order_.uses_flat_scratch, 0
	.set _ZN9rocsparseL28csrmmnn_general_block_reduceILj1024EiiiiEEvT0_PKT1_PKT3_PT2_l16rocsparse_order_.has_dyn_sized_stack, 0
	.set _ZN9rocsparseL28csrmmnn_general_block_reduceILj1024EiiiiEEvT0_PKT1_PKT3_PT2_l16rocsparse_order_.has_recursion, 0
	.set _ZN9rocsparseL28csrmmnn_general_block_reduceILj1024EiiiiEEvT0_PKT1_PKT3_PT2_l16rocsparse_order_.has_indirect_call, 0
	.section	.AMDGPU.csdata,"",@progbits
; Kernel info:
; codeLenInByte = 1916
; TotalNumSgprs: 30
; NumVgprs: 29
; ScratchSize: 0
; MemoryBound: 0
; FloatMode: 240
; IeeeMode: 1
; LDSByteSize: 8192 bytes/workgroup (compile time only)
; SGPRBlocks: 0
; VGPRBlocks: 3
; NumSGPRsForWavesPerEU: 30
; NumVGPRsForWavesPerEU: 29
; Occupancy: 16
; WaveLimiterHint : 0
; COMPUTE_PGM_RSRC2:SCRATCH_EN: 0
; COMPUTE_PGM_RSRC2:USER_SGPR: 6
; COMPUTE_PGM_RSRC2:TRAP_HANDLER: 0
; COMPUTE_PGM_RSRC2:TGID_X_EN: 1
; COMPUTE_PGM_RSRC2:TGID_Y_EN: 0
; COMPUTE_PGM_RSRC2:TGID_Z_EN: 0
; COMPUTE_PGM_RSRC2:TIDIG_COMP_CNT: 0
	.section	.text._ZN9rocsparseL28csrmmnn_general_block_reduceILj1024EliiiEEvT0_PKT1_PKT3_PT2_l16rocsparse_order_,"axG",@progbits,_ZN9rocsparseL28csrmmnn_general_block_reduceILj1024EliiiEEvT0_PKT1_PKT3_PT2_l16rocsparse_order_,comdat
	.globl	_ZN9rocsparseL28csrmmnn_general_block_reduceILj1024EliiiEEvT0_PKT1_PKT3_PT2_l16rocsparse_order_ ; -- Begin function _ZN9rocsparseL28csrmmnn_general_block_reduceILj1024EliiiEEvT0_PKT1_PKT3_PT2_l16rocsparse_order_
	.p2align	8
	.type	_ZN9rocsparseL28csrmmnn_general_block_reduceILj1024EliiiEEvT0_PKT1_PKT3_PT2_l16rocsparse_order_,@function
_ZN9rocsparseL28csrmmnn_general_block_reduceILj1024EliiiEEvT0_PKT1_PKT3_PT2_l16rocsparse_order_: ; @_ZN9rocsparseL28csrmmnn_general_block_reduceILj1024EliiiEEvT0_PKT1_PKT3_PT2_l16rocsparse_order_
; %bb.0:
	s_load_dwordx2 s[20:21], s[4:5], 0x0
	v_mov_b32_e32 v3, -1
	v_mov_b32_e32 v1, 0
	v_lshlrev_b32_e32 v10, 3, v0
	v_lshlrev_b32_e32 v2, 2, v0
	s_mov_b32 s0, exec_lo
	v_mov_b32_e32 v4, v3
	ds_write_b64 v10, v[3:4]
	ds_write_b32 v2, v1 offset:8192
	s_waitcnt lgkmcnt(0)
	s_barrier
	buffer_gl0_inv
	v_cmpx_gt_i64_e64 s[20:21], v[0:1]
	s_cbranch_execz .LBB16_50
; %bb.1:
	s_clause 0x1
	s_load_dwordx8 s[12:19], s[4:5], 0x8
	s_load_dword s11, s[4:5], 0x28
	s_mov_b32 s7, 0
	v_lshlrev_b32_e32 v4, 2, v0
	s_lshl_b64 s[8:9], s[6:7], 2
	v_or_b32_e32 v11, 0x2000, v2
	v_cmp_ne_u32_e64 s0, 0, v0
	v_add_nc_u32_e32 v12, -8, v10
	v_cmp_lt_u32_e64 s1, 1, v0
	v_add_nc_u32_e32 v13, -16, v10
	v_cmp_lt_u32_e64 s2, 3, v0
	v_subrev_nc_u32_e32 v14, 32, v10
	v_cmp_lt_u32_e64 s3, 7, v0
	v_subrev_nc_u32_e32 v15, 64, v10
	v_cmp_lt_u32_e64 s4, 15, v0
	v_add_nc_u32_e32 v16, 0xffffff80, v10
	v_add_nc_u32_e32 v17, -4, v11
	v_add_nc_u32_e32 v18, -8, v11
	;; [unrolled: 1-line block ×3, first 2 shown]
	v_subrev_nc_u32_e32 v20, 32, v11
	s_waitcnt lgkmcnt(0)
	s_add_u32 s22, s16, s8
	s_addc_u32 s23, s17, s9
	s_cmp_lg_u32 s11, 1
	s_mul_i32 s11, s19, s6
	s_mul_hi_u32 s25, s18, s6
	s_cselect_b32 s24, -1, 0
	s_add_i32 s27, s25, s11
	s_mul_i32 s26, s18, s6
	s_mul_i32 s25, s21, s6
	s_lshl_b64 s[26:27], s[26:27], 2
	v_subrev_nc_u32_e32 v21, 64, v11
	s_add_u32 s16, s16, s26
	s_mul_hi_u32 s26, s20, s6
	s_addc_u32 s17, s17, s27
	s_add_i32 s27, s26, s25
	s_mul_i32 s26, s20, s6
	v_cmp_lt_u32_e64 s5, 31, v0
	s_lshl_b64 s[26:27], s[26:27], 2
	v_add_nc_u32_e32 v22, 0xffffff00, v10
	s_add_u32 s14, s14, s26
	s_addc_u32 s15, s15, s27
	v_add_co_u32 v2, s14, s14, v4
	v_add_co_u32 v4, s12, s12, v4
	v_add_nc_u32_e32 v23, 0xffffff80, v11
	v_cmp_lt_u32_e64 s8, 63, v0
	v_add_nc_u32_e32 v24, 0xfffffe00, v10
	v_add_nc_u32_e32 v25, 0xffffff00, v11
	v_cmp_lt_u32_e64 s9, 0x7f, v0
	v_add_nc_u32_e32 v26, 0xfffffc00, v10
	;; [unrolled: 3-line block ×4, first 2 shown]
	v_add_nc_u32_e32 v31, 0xfffff800, v11
	v_cmp_ne_u32_e64 s6, 0x3ff, v0
	v_add_co_ci_u32_e64 v3, null, s15, 0, s14
	v_add_co_ci_u32_e64 v5, null, s13, 0, s12
	s_branch .LBB16_3
.LBB16_2:                               ;   in Loop: Header=BB16_3 Depth=1
	s_or_b32 exec_lo, exec_lo, s12
	v_add_co_u32 v0, vcc_lo, 0x400, v0
	v_add_co_ci_u32_e64 v1, null, 0, v1, vcc_lo
	v_add_co_u32 v2, vcc_lo, 0x1000, v2
	v_add_co_ci_u32_e64 v3, null, 0, v3, vcc_lo
	v_cmp_le_i64_e32 vcc_lo, s[20:21], v[0:1]
	v_add_co_u32 v4, s12, 0x1000, v4
	v_add_co_ci_u32_e64 v5, null, 0, v5, s12
	s_waitcnt_vscnt null, 0x0
	s_or_b32 s7, vcc_lo, s7
	s_barrier
	buffer_gl0_inv
	s_andn2_b32 exec_lo, exec_lo, s7
	s_cbranch_execz .LBB16_50
.LBB16_3:                               ; =>This Inner Loop Header: Depth=1
	global_load_dword v8, v[4:5], off
	global_load_dword v32, v[2:3], off
	v_mov_b32_e32 v6, 0
	v_mov_b32_e32 v7, 0
	s_waitcnt vmcnt(1)
	v_ashrrev_i32_e32 v9, 31, v8
	s_waitcnt vmcnt(0)
	ds_write_b32 v11, v32
	ds_write_b64 v10, v[8:9]
	s_waitcnt lgkmcnt(0)
	s_barrier
	buffer_gl0_inv
	s_and_saveexec_b32 s12, s0
	s_cbranch_execz .LBB16_7
; %bb.4:                                ;   in Loop: Header=BB16_3 Depth=1
	ds_read2_b64 v[32:35], v12 offset1:1
	v_mov_b32_e32 v7, 0
	s_mov_b32 s13, exec_lo
	s_waitcnt lgkmcnt(0)
	v_cmpx_eq_u64_e64 v[34:35], v[32:33]
; %bb.5:                                ;   in Loop: Header=BB16_3 Depth=1
	ds_read_b32 v7, v17
; %bb.6:                                ;   in Loop: Header=BB16_3 Depth=1
	s_or_b32 exec_lo, exec_lo, s13
.LBB16_7:                               ;   in Loop: Header=BB16_3 Depth=1
	s_or_b32 exec_lo, exec_lo, s12
	s_waitcnt lgkmcnt(0)
	s_barrier
	buffer_gl0_inv
	ds_read_b32 v8, v11
	s_waitcnt lgkmcnt(0)
	v_add_nc_u32_e32 v7, v8, v7
	ds_write_b32 v11, v7
	s_waitcnt lgkmcnt(0)
	s_barrier
	buffer_gl0_inv
	s_and_saveexec_b32 s12, s1
	s_cbranch_execz .LBB16_11
; %bb.8:                                ;   in Loop: Header=BB16_3 Depth=1
	ds_read_b64 v[6:7], v10
	ds_read_b64 v[8:9], v13
	s_waitcnt lgkmcnt(0)
	v_cmp_eq_u64_e32 vcc_lo, v[6:7], v[8:9]
	v_mov_b32_e32 v6, 0
	s_and_saveexec_b32 s13, vcc_lo
; %bb.9:                                ;   in Loop: Header=BB16_3 Depth=1
	ds_read_b32 v6, v18
; %bb.10:                               ;   in Loop: Header=BB16_3 Depth=1
	s_or_b32 exec_lo, exec_lo, s13
.LBB16_11:                              ;   in Loop: Header=BB16_3 Depth=1
	s_or_b32 exec_lo, exec_lo, s12
	s_waitcnt lgkmcnt(0)
	s_barrier
	buffer_gl0_inv
	ds_read_b32 v7, v11
	s_waitcnt lgkmcnt(0)
	v_add_nc_u32_e32 v8, v7, v6
	v_mov_b32_e32 v6, 0
	v_mov_b32_e32 v7, 0
	ds_write_b32 v11, v8
	s_waitcnt lgkmcnt(0)
	s_barrier
	buffer_gl0_inv
	s_and_saveexec_b32 s12, s2
	s_cbranch_execz .LBB16_15
; %bb.12:                               ;   in Loop: Header=BB16_3 Depth=1
	ds_read_b64 v[7:8], v10
	ds_read_b64 v[32:33], v14
	s_waitcnt lgkmcnt(0)
	v_cmp_eq_u64_e32 vcc_lo, v[7:8], v[32:33]
	v_mov_b32_e32 v7, 0
	s_and_saveexec_b32 s13, vcc_lo
; %bb.13:                               ;   in Loop: Header=BB16_3 Depth=1
	ds_read_b32 v7, v19
; %bb.14:                               ;   in Loop: Header=BB16_3 Depth=1
	s_or_b32 exec_lo, exec_lo, s13
.LBB16_15:                              ;   in Loop: Header=BB16_3 Depth=1
	s_or_b32 exec_lo, exec_lo, s12
	s_waitcnt lgkmcnt(0)
	s_barrier
	buffer_gl0_inv
	ds_read_b32 v8, v11
	s_waitcnt lgkmcnt(0)
	v_add_nc_u32_e32 v7, v8, v7
	ds_write_b32 v11, v7
	s_waitcnt lgkmcnt(0)
	s_barrier
	buffer_gl0_inv
	s_and_saveexec_b32 s12, s3
	s_cbranch_execz .LBB16_19
; %bb.16:                               ;   in Loop: Header=BB16_3 Depth=1
	ds_read_b64 v[6:7], v10
	ds_read_b64 v[8:9], v15
	s_waitcnt lgkmcnt(0)
	v_cmp_eq_u64_e32 vcc_lo, v[6:7], v[8:9]
	v_mov_b32_e32 v6, 0
	s_and_saveexec_b32 s13, vcc_lo
; %bb.17:                               ;   in Loop: Header=BB16_3 Depth=1
	ds_read_b32 v6, v20
; %bb.18:                               ;   in Loop: Header=BB16_3 Depth=1
	s_or_b32 exec_lo, exec_lo, s13
.LBB16_19:                              ;   in Loop: Header=BB16_3 Depth=1
	s_or_b32 exec_lo, exec_lo, s12
	s_waitcnt lgkmcnt(0)
	s_barrier
	buffer_gl0_inv
	ds_read_b32 v7, v11
	s_waitcnt lgkmcnt(0)
	v_add_nc_u32_e32 v8, v7, v6
	v_mov_b32_e32 v6, 0
	v_mov_b32_e32 v7, 0
	ds_write_b32 v11, v8
	s_waitcnt lgkmcnt(0)
	s_barrier
	buffer_gl0_inv
	s_and_saveexec_b32 s12, s4
	s_cbranch_execz .LBB16_23
; %bb.20:                               ;   in Loop: Header=BB16_3 Depth=1
	ds_read_b64 v[7:8], v10
	ds_read_b64 v[32:33], v16
	s_waitcnt lgkmcnt(0)
	v_cmp_eq_u64_e32 vcc_lo, v[7:8], v[32:33]
	v_mov_b32_e32 v7, 0
	s_and_saveexec_b32 s13, vcc_lo
; %bb.21:                               ;   in Loop: Header=BB16_3 Depth=1
	ds_read_b32 v7, v21
; %bb.22:                               ;   in Loop: Header=BB16_3 Depth=1
	s_or_b32 exec_lo, exec_lo, s13
.LBB16_23:                              ;   in Loop: Header=BB16_3 Depth=1
	s_or_b32 exec_lo, exec_lo, s12
	s_waitcnt lgkmcnt(0)
	s_barrier
	buffer_gl0_inv
	ds_read_b32 v8, v11
	s_waitcnt lgkmcnt(0)
	v_add_nc_u32_e32 v7, v8, v7
	ds_write_b32 v11, v7
	s_waitcnt lgkmcnt(0)
	s_barrier
	buffer_gl0_inv
	s_and_saveexec_b32 s12, s5
	s_cbranch_execz .LBB16_27
; %bb.24:                               ;   in Loop: Header=BB16_3 Depth=1
	ds_read_b64 v[6:7], v10
	ds_read_b64 v[8:9], v22
	s_waitcnt lgkmcnt(0)
	v_cmp_eq_u64_e32 vcc_lo, v[6:7], v[8:9]
	v_mov_b32_e32 v6, 0
	s_and_saveexec_b32 s13, vcc_lo
; %bb.25:                               ;   in Loop: Header=BB16_3 Depth=1
	ds_read_b32 v6, v23
; %bb.26:                               ;   in Loop: Header=BB16_3 Depth=1
	s_or_b32 exec_lo, exec_lo, s13
.LBB16_27:                              ;   in Loop: Header=BB16_3 Depth=1
	;; [unrolled: 52-line block ×4, first 2 shown]
	s_or_b32 exec_lo, exec_lo, s12
	s_waitcnt lgkmcnt(0)
	s_barrier
	buffer_gl0_inv
	ds_read_b32 v7, v11
	v_mov_b32_e32 v8, -1
	v_mov_b32_e32 v9, -1
	s_waitcnt lgkmcnt(0)
	v_add_nc_u32_e32 v6, v7, v6
	ds_write_b32 v11, v6
	s_waitcnt lgkmcnt(0)
	s_barrier
	buffer_gl0_inv
	ds_read_b64 v[6:7], v10
	s_and_saveexec_b32 s12, s6
; %bb.44:                               ;   in Loop: Header=BB16_3 Depth=1
	ds_read_b64 v[8:9], v10 offset:8
; %bb.45:                               ;   in Loop: Header=BB16_3 Depth=1
	s_or_b32 exec_lo, exec_lo, s12
	s_waitcnt lgkmcnt(0)
	v_cmp_ne_u64_e32 vcc_lo, v[6:7], v[8:9]
	v_cmp_lt_i64_e64 s12, -1, v[6:7]
	s_and_b32 s13, s12, vcc_lo
	s_and_saveexec_b32 s12, s13
	s_cbranch_execz .LBB16_2
; %bb.46:                               ;   in Loop: Header=BB16_3 Depth=1
	s_and_b32 vcc_lo, exec_lo, s24
	s_mov_b32 s13, -1
	s_cbranch_vccz .LBB16_48
; %bb.47:                               ;   in Loop: Header=BB16_3 Depth=1
	v_mul_lo_u32 v32, v7, s18
	v_mul_lo_u32 v33, v6, s19
	v_mad_u64_u32 v[8:9], null, v6, s18, 0
	s_mov_b32 s13, 0
	v_add3_u32 v9, v9, v33, v32
	ds_read_b32 v33, v11
	v_lshlrev_b64 v[8:9], 2, v[8:9]
	v_add_co_u32 v8, vcc_lo, s22, v8
	v_add_co_ci_u32_e64 v9, null, s23, v9, vcc_lo
	global_load_dword v32, v[8:9], off
	s_waitcnt vmcnt(0) lgkmcnt(0)
	v_add_nc_u32_e32 v32, v33, v32
	global_store_dword v[8:9], v32, off
.LBB16_48:                              ;   in Loop: Header=BB16_3 Depth=1
	s_andn2_b32 vcc_lo, exec_lo, s13
	s_cbranch_vccnz .LBB16_2
; %bb.49:                               ;   in Loop: Header=BB16_3 Depth=1
	v_lshlrev_b64 v[6:7], 2, v[6:7]
	ds_read_b32 v9, v11
	v_add_co_u32 v6, vcc_lo, s16, v6
	v_add_co_ci_u32_e64 v7, null, s17, v7, vcc_lo
	global_load_dword v8, v[6:7], off
	s_waitcnt vmcnt(0) lgkmcnt(0)
	v_add_nc_u32_e32 v8, v9, v8
	global_store_dword v[6:7], v8, off
	s_branch .LBB16_2
.LBB16_50:
	s_endpgm
	.section	.rodata,"a",@progbits
	.p2align	6, 0x0
	.amdhsa_kernel _ZN9rocsparseL28csrmmnn_general_block_reduceILj1024EliiiEEvT0_PKT1_PKT3_PT2_l16rocsparse_order_
		.amdhsa_group_segment_fixed_size 12288
		.amdhsa_private_segment_fixed_size 0
		.amdhsa_kernarg_size 44
		.amdhsa_user_sgpr_count 6
		.amdhsa_user_sgpr_private_segment_buffer 1
		.amdhsa_user_sgpr_dispatch_ptr 0
		.amdhsa_user_sgpr_queue_ptr 0
		.amdhsa_user_sgpr_kernarg_segment_ptr 1
		.amdhsa_user_sgpr_dispatch_id 0
		.amdhsa_user_sgpr_flat_scratch_init 0
		.amdhsa_user_sgpr_private_segment_size 0
		.amdhsa_wavefront_size32 1
		.amdhsa_uses_dynamic_stack 0
		.amdhsa_system_sgpr_private_segment_wavefront_offset 0
		.amdhsa_system_sgpr_workgroup_id_x 1
		.amdhsa_system_sgpr_workgroup_id_y 0
		.amdhsa_system_sgpr_workgroup_id_z 0
		.amdhsa_system_sgpr_workgroup_info 0
		.amdhsa_system_vgpr_workitem_id 0
		.amdhsa_next_free_vgpr 36
		.amdhsa_next_free_sgpr 28
		.amdhsa_reserve_vcc 1
		.amdhsa_reserve_flat_scratch 0
		.amdhsa_float_round_mode_32 0
		.amdhsa_float_round_mode_16_64 0
		.amdhsa_float_denorm_mode_32 3
		.amdhsa_float_denorm_mode_16_64 3
		.amdhsa_dx10_clamp 1
		.amdhsa_ieee_mode 1
		.amdhsa_fp16_overflow 0
		.amdhsa_workgroup_processor_mode 1
		.amdhsa_memory_ordered 1
		.amdhsa_forward_progress 1
		.amdhsa_shared_vgpr_count 0
		.amdhsa_exception_fp_ieee_invalid_op 0
		.amdhsa_exception_fp_denorm_src 0
		.amdhsa_exception_fp_ieee_div_zero 0
		.amdhsa_exception_fp_ieee_overflow 0
		.amdhsa_exception_fp_ieee_underflow 0
		.amdhsa_exception_fp_ieee_inexact 0
		.amdhsa_exception_int_div_zero 0
	.end_amdhsa_kernel
	.section	.text._ZN9rocsparseL28csrmmnn_general_block_reduceILj1024EliiiEEvT0_PKT1_PKT3_PT2_l16rocsparse_order_,"axG",@progbits,_ZN9rocsparseL28csrmmnn_general_block_reduceILj1024EliiiEEvT0_PKT1_PKT3_PT2_l16rocsparse_order_,comdat
.Lfunc_end16:
	.size	_ZN9rocsparseL28csrmmnn_general_block_reduceILj1024EliiiEEvT0_PKT1_PKT3_PT2_l16rocsparse_order_, .Lfunc_end16-_ZN9rocsparseL28csrmmnn_general_block_reduceILj1024EliiiEEvT0_PKT1_PKT3_PT2_l16rocsparse_order_
                                        ; -- End function
	.set _ZN9rocsparseL28csrmmnn_general_block_reduceILj1024EliiiEEvT0_PKT1_PKT3_PT2_l16rocsparse_order_.num_vgpr, 36
	.set _ZN9rocsparseL28csrmmnn_general_block_reduceILj1024EliiiEEvT0_PKT1_PKT3_PT2_l16rocsparse_order_.num_agpr, 0
	.set _ZN9rocsparseL28csrmmnn_general_block_reduceILj1024EliiiEEvT0_PKT1_PKT3_PT2_l16rocsparse_order_.numbered_sgpr, 28
	.set _ZN9rocsparseL28csrmmnn_general_block_reduceILj1024EliiiEEvT0_PKT1_PKT3_PT2_l16rocsparse_order_.num_named_barrier, 0
	.set _ZN9rocsparseL28csrmmnn_general_block_reduceILj1024EliiiEEvT0_PKT1_PKT3_PT2_l16rocsparse_order_.private_seg_size, 0
	.set _ZN9rocsparseL28csrmmnn_general_block_reduceILj1024EliiiEEvT0_PKT1_PKT3_PT2_l16rocsparse_order_.uses_vcc, 1
	.set _ZN9rocsparseL28csrmmnn_general_block_reduceILj1024EliiiEEvT0_PKT1_PKT3_PT2_l16rocsparse_order_.uses_flat_scratch, 0
	.set _ZN9rocsparseL28csrmmnn_general_block_reduceILj1024EliiiEEvT0_PKT1_PKT3_PT2_l16rocsparse_order_.has_dyn_sized_stack, 0
	.set _ZN9rocsparseL28csrmmnn_general_block_reduceILj1024EliiiEEvT0_PKT1_PKT3_PT2_l16rocsparse_order_.has_recursion, 0
	.set _ZN9rocsparseL28csrmmnn_general_block_reduceILj1024EliiiEEvT0_PKT1_PKT3_PT2_l16rocsparse_order_.has_indirect_call, 0
	.section	.AMDGPU.csdata,"",@progbits
; Kernel info:
; codeLenInByte = 2004
; TotalNumSgprs: 30
; NumVgprs: 36
; ScratchSize: 0
; MemoryBound: 0
; FloatMode: 240
; IeeeMode: 1
; LDSByteSize: 12288 bytes/workgroup (compile time only)
; SGPRBlocks: 0
; VGPRBlocks: 4
; NumSGPRsForWavesPerEU: 30
; NumVGPRsForWavesPerEU: 36
; Occupancy: 16
; WaveLimiterHint : 0
; COMPUTE_PGM_RSRC2:SCRATCH_EN: 0
; COMPUTE_PGM_RSRC2:USER_SGPR: 6
; COMPUTE_PGM_RSRC2:TRAP_HANDLER: 0
; COMPUTE_PGM_RSRC2:TGID_X_EN: 1
; COMPUTE_PGM_RSRC2:TGID_Y_EN: 0
; COMPUTE_PGM_RSRC2:TGID_Z_EN: 0
; COMPUTE_PGM_RSRC2:TIDIG_COMP_CNT: 0
	.section	.text._ZN9rocsparseL28csrmmnn_general_block_reduceILj1024ElliiEEvT0_PKT1_PKT3_PT2_l16rocsparse_order_,"axG",@progbits,_ZN9rocsparseL28csrmmnn_general_block_reduceILj1024ElliiEEvT0_PKT1_PKT3_PT2_l16rocsparse_order_,comdat
	.globl	_ZN9rocsparseL28csrmmnn_general_block_reduceILj1024ElliiEEvT0_PKT1_PKT3_PT2_l16rocsparse_order_ ; -- Begin function _ZN9rocsparseL28csrmmnn_general_block_reduceILj1024ElliiEEvT0_PKT1_PKT3_PT2_l16rocsparse_order_
	.p2align	8
	.type	_ZN9rocsparseL28csrmmnn_general_block_reduceILj1024ElliiEEvT0_PKT1_PKT3_PT2_l16rocsparse_order_,@function
_ZN9rocsparseL28csrmmnn_general_block_reduceILj1024ElliiEEvT0_PKT1_PKT3_PT2_l16rocsparse_order_: ; @_ZN9rocsparseL28csrmmnn_general_block_reduceILj1024ElliiEEvT0_PKT1_PKT3_PT2_l16rocsparse_order_
; %bb.0:
	s_load_dwordx2 s[20:21], s[4:5], 0x0
	v_mov_b32_e32 v3, -1
	v_mov_b32_e32 v1, 0
	v_lshlrev_b32_e32 v10, 3, v0
	v_lshlrev_b32_e32 v2, 2, v0
	s_mov_b32 s0, exec_lo
	v_mov_b32_e32 v4, v3
	ds_write_b64 v10, v[3:4]
	ds_write_b32 v2, v1 offset:8192
	s_waitcnt lgkmcnt(0)
	s_barrier
	buffer_gl0_inv
	v_cmpx_gt_i64_e64 s[20:21], v[0:1]
	s_cbranch_execz .LBB17_50
; %bb.1:
	s_clause 0x1
	s_load_dwordx8 s[12:19], s[4:5], 0x8
	s_load_dword s24, s[4:5], 0x28
	s_mov_b32 s7, 0
	v_or_b32_e32 v11, 0x2000, v2
	s_lshl_b64 s[8:9], s[6:7], 2
	v_lshlrev_b32_e32 v2, 2, v0
	v_lshlrev_b32_e32 v4, 3, v0
	v_cmp_ne_u32_e64 s0, 0, v0
	v_add_nc_u32_e32 v12, -8, v10
	v_cmp_lt_u32_e64 s1, 1, v0
	v_add_nc_u32_e32 v13, -16, v10
	v_cmp_lt_u32_e64 s2, 3, v0
	v_subrev_nc_u32_e32 v14, 32, v10
	v_cmp_lt_u32_e64 s3, 7, v0
	v_subrev_nc_u32_e32 v15, 64, v10
	v_cmp_lt_u32_e64 s4, 15, v0
	v_add_nc_u32_e32 v16, 0xffffff80, v10
	v_add_nc_u32_e32 v17, -4, v11
	v_add_nc_u32_e32 v18, -8, v11
	;; [unrolled: 1-line block ×3, first 2 shown]
	s_waitcnt lgkmcnt(0)
	s_add_u32 s22, s16, s8
	s_addc_u32 s23, s17, s9
	s_cmp_lg_u32 s24, 1
	s_mul_i32 s25, s19, s6
	s_mul_hi_u32 s26, s18, s6
	s_cselect_b32 s24, -1, 0
	s_add_i32 s27, s26, s25
	s_mul_i32 s26, s18, s6
	s_mul_i32 s25, s21, s6
	s_lshl_b64 s[26:27], s[26:27], 2
	v_add_co_u32 v4, s12, s12, v4
	s_add_u32 s16, s16, s26
	s_mul_hi_u32 s26, s20, s6
	s_addc_u32 s17, s17, s27
	s_add_i32 s27, s26, s25
	s_mul_i32 s26, s20, s6
	v_subrev_nc_u32_e32 v20, 32, v11
	s_lshl_b64 s[26:27], s[26:27], 2
	v_subrev_nc_u32_e32 v21, 64, v11
	s_add_u32 s14, s14, s26
	s_addc_u32 s15, s15, s27
	v_add_co_u32 v2, s14, s14, v2
	v_cmp_lt_u32_e64 s5, 31, v0
	v_add_nc_u32_e32 v22, 0xffffff00, v10
	v_add_nc_u32_e32 v23, 0xffffff80, v11
	v_cmp_lt_u32_e64 s8, 63, v0
	v_add_nc_u32_e32 v24, 0xfffffe00, v10
	v_add_nc_u32_e32 v25, 0xffffff00, v11
	;; [unrolled: 3-line block ×5, first 2 shown]
	v_cmp_ne_u32_e64 s6, 0x3ff, v0
	v_add_co_ci_u32_e64 v3, null, s15, 0, s14
	v_add_co_ci_u32_e64 v5, null, s13, 0, s12
	s_branch .LBB17_3
.LBB17_2:                               ;   in Loop: Header=BB17_3 Depth=1
	s_or_b32 exec_lo, exec_lo, s12
	v_add_co_u32 v0, vcc_lo, 0x400, v0
	v_add_co_ci_u32_e64 v1, null, 0, v1, vcc_lo
	v_add_co_u32 v2, vcc_lo, 0x1000, v2
	v_add_co_ci_u32_e64 v3, null, 0, v3, vcc_lo
	v_cmp_le_i64_e32 vcc_lo, s[20:21], v[0:1]
	v_add_co_u32 v4, s12, 0x2000, v4
	v_add_co_ci_u32_e64 v5, null, 0, v5, s12
	s_waitcnt_vscnt null, 0x0
	s_or_b32 s7, vcc_lo, s7
	s_barrier
	buffer_gl0_inv
	s_andn2_b32 exec_lo, exec_lo, s7
	s_cbranch_execz .LBB17_50
.LBB17_3:                               ; =>This Inner Loop Header: Depth=1
	global_load_dwordx2 v[8:9], v[4:5], off
	global_load_dword v32, v[2:3], off
	v_mov_b32_e32 v6, 0
	v_mov_b32_e32 v7, 0
	s_waitcnt vmcnt(1)
	ds_write_b64 v10, v[8:9]
	s_waitcnt vmcnt(0)
	ds_write_b32 v11, v32
	s_waitcnt lgkmcnt(0)
	s_barrier
	buffer_gl0_inv
	s_and_saveexec_b32 s12, s0
	s_cbranch_execz .LBB17_7
; %bb.4:                                ;   in Loop: Header=BB17_3 Depth=1
	ds_read2_b64 v[32:35], v12 offset1:1
	v_mov_b32_e32 v7, 0
	s_mov_b32 s13, exec_lo
	s_waitcnt lgkmcnt(0)
	v_cmpx_eq_u64_e64 v[34:35], v[32:33]
; %bb.5:                                ;   in Loop: Header=BB17_3 Depth=1
	ds_read_b32 v7, v17
; %bb.6:                                ;   in Loop: Header=BB17_3 Depth=1
	s_or_b32 exec_lo, exec_lo, s13
.LBB17_7:                               ;   in Loop: Header=BB17_3 Depth=1
	s_or_b32 exec_lo, exec_lo, s12
	s_waitcnt lgkmcnt(0)
	s_barrier
	buffer_gl0_inv
	ds_read_b32 v8, v11
	s_waitcnt lgkmcnt(0)
	v_add_nc_u32_e32 v7, v8, v7
	ds_write_b32 v11, v7
	s_waitcnt lgkmcnt(0)
	s_barrier
	buffer_gl0_inv
	s_and_saveexec_b32 s12, s1
	s_cbranch_execz .LBB17_11
; %bb.8:                                ;   in Loop: Header=BB17_3 Depth=1
	ds_read_b64 v[6:7], v10
	ds_read_b64 v[8:9], v13
	s_waitcnt lgkmcnt(0)
	v_cmp_eq_u64_e32 vcc_lo, v[6:7], v[8:9]
	v_mov_b32_e32 v6, 0
	s_and_saveexec_b32 s13, vcc_lo
; %bb.9:                                ;   in Loop: Header=BB17_3 Depth=1
	ds_read_b32 v6, v18
; %bb.10:                               ;   in Loop: Header=BB17_3 Depth=1
	s_or_b32 exec_lo, exec_lo, s13
.LBB17_11:                              ;   in Loop: Header=BB17_3 Depth=1
	s_or_b32 exec_lo, exec_lo, s12
	s_waitcnt lgkmcnt(0)
	s_barrier
	buffer_gl0_inv
	ds_read_b32 v7, v11
	s_waitcnt lgkmcnt(0)
	v_add_nc_u32_e32 v8, v7, v6
	v_mov_b32_e32 v6, 0
	v_mov_b32_e32 v7, 0
	ds_write_b32 v11, v8
	s_waitcnt lgkmcnt(0)
	s_barrier
	buffer_gl0_inv
	s_and_saveexec_b32 s12, s2
	s_cbranch_execz .LBB17_15
; %bb.12:                               ;   in Loop: Header=BB17_3 Depth=1
	ds_read_b64 v[7:8], v10
	ds_read_b64 v[32:33], v14
	s_waitcnt lgkmcnt(0)
	v_cmp_eq_u64_e32 vcc_lo, v[7:8], v[32:33]
	v_mov_b32_e32 v7, 0
	s_and_saveexec_b32 s13, vcc_lo
; %bb.13:                               ;   in Loop: Header=BB17_3 Depth=1
	ds_read_b32 v7, v19
; %bb.14:                               ;   in Loop: Header=BB17_3 Depth=1
	s_or_b32 exec_lo, exec_lo, s13
.LBB17_15:                              ;   in Loop: Header=BB17_3 Depth=1
	s_or_b32 exec_lo, exec_lo, s12
	s_waitcnt lgkmcnt(0)
	s_barrier
	buffer_gl0_inv
	ds_read_b32 v8, v11
	s_waitcnt lgkmcnt(0)
	v_add_nc_u32_e32 v7, v8, v7
	ds_write_b32 v11, v7
	s_waitcnt lgkmcnt(0)
	s_barrier
	buffer_gl0_inv
	s_and_saveexec_b32 s12, s3
	s_cbranch_execz .LBB17_19
; %bb.16:                               ;   in Loop: Header=BB17_3 Depth=1
	ds_read_b64 v[6:7], v10
	ds_read_b64 v[8:9], v15
	s_waitcnt lgkmcnt(0)
	v_cmp_eq_u64_e32 vcc_lo, v[6:7], v[8:9]
	v_mov_b32_e32 v6, 0
	s_and_saveexec_b32 s13, vcc_lo
; %bb.17:                               ;   in Loop: Header=BB17_3 Depth=1
	ds_read_b32 v6, v20
; %bb.18:                               ;   in Loop: Header=BB17_3 Depth=1
	s_or_b32 exec_lo, exec_lo, s13
.LBB17_19:                              ;   in Loop: Header=BB17_3 Depth=1
	s_or_b32 exec_lo, exec_lo, s12
	s_waitcnt lgkmcnt(0)
	s_barrier
	buffer_gl0_inv
	ds_read_b32 v7, v11
	s_waitcnt lgkmcnt(0)
	v_add_nc_u32_e32 v8, v7, v6
	v_mov_b32_e32 v6, 0
	v_mov_b32_e32 v7, 0
	ds_write_b32 v11, v8
	s_waitcnt lgkmcnt(0)
	s_barrier
	buffer_gl0_inv
	s_and_saveexec_b32 s12, s4
	s_cbranch_execz .LBB17_23
; %bb.20:                               ;   in Loop: Header=BB17_3 Depth=1
	ds_read_b64 v[7:8], v10
	ds_read_b64 v[32:33], v16
	s_waitcnt lgkmcnt(0)
	v_cmp_eq_u64_e32 vcc_lo, v[7:8], v[32:33]
	v_mov_b32_e32 v7, 0
	s_and_saveexec_b32 s13, vcc_lo
; %bb.21:                               ;   in Loop: Header=BB17_3 Depth=1
	ds_read_b32 v7, v21
; %bb.22:                               ;   in Loop: Header=BB17_3 Depth=1
	s_or_b32 exec_lo, exec_lo, s13
.LBB17_23:                              ;   in Loop: Header=BB17_3 Depth=1
	s_or_b32 exec_lo, exec_lo, s12
	s_waitcnt lgkmcnt(0)
	s_barrier
	buffer_gl0_inv
	ds_read_b32 v8, v11
	s_waitcnt lgkmcnt(0)
	v_add_nc_u32_e32 v7, v8, v7
	ds_write_b32 v11, v7
	s_waitcnt lgkmcnt(0)
	s_barrier
	buffer_gl0_inv
	s_and_saveexec_b32 s12, s5
	s_cbranch_execz .LBB17_27
; %bb.24:                               ;   in Loop: Header=BB17_3 Depth=1
	ds_read_b64 v[6:7], v10
	ds_read_b64 v[8:9], v22
	s_waitcnt lgkmcnt(0)
	v_cmp_eq_u64_e32 vcc_lo, v[6:7], v[8:9]
	v_mov_b32_e32 v6, 0
	s_and_saveexec_b32 s13, vcc_lo
; %bb.25:                               ;   in Loop: Header=BB17_3 Depth=1
	ds_read_b32 v6, v23
; %bb.26:                               ;   in Loop: Header=BB17_3 Depth=1
	s_or_b32 exec_lo, exec_lo, s13
.LBB17_27:                              ;   in Loop: Header=BB17_3 Depth=1
	;; [unrolled: 52-line block ×4, first 2 shown]
	s_or_b32 exec_lo, exec_lo, s12
	s_waitcnt lgkmcnt(0)
	s_barrier
	buffer_gl0_inv
	ds_read_b32 v7, v11
	v_mov_b32_e32 v8, -1
	v_mov_b32_e32 v9, -1
	s_waitcnt lgkmcnt(0)
	v_add_nc_u32_e32 v6, v7, v6
	ds_write_b32 v11, v6
	s_waitcnt lgkmcnt(0)
	s_barrier
	buffer_gl0_inv
	ds_read_b64 v[6:7], v10
	s_and_saveexec_b32 s12, s6
; %bb.44:                               ;   in Loop: Header=BB17_3 Depth=1
	ds_read_b64 v[8:9], v10 offset:8
; %bb.45:                               ;   in Loop: Header=BB17_3 Depth=1
	s_or_b32 exec_lo, exec_lo, s12
	s_waitcnt lgkmcnt(0)
	v_cmp_ne_u64_e32 vcc_lo, v[6:7], v[8:9]
	v_cmp_lt_i64_e64 s12, -1, v[6:7]
	s_and_b32 s13, s12, vcc_lo
	s_and_saveexec_b32 s12, s13
	s_cbranch_execz .LBB17_2
; %bb.46:                               ;   in Loop: Header=BB17_3 Depth=1
	s_and_b32 vcc_lo, exec_lo, s24
	s_mov_b32 s13, -1
	s_cbranch_vccz .LBB17_48
; %bb.47:                               ;   in Loop: Header=BB17_3 Depth=1
	v_mul_lo_u32 v32, v7, s18
	v_mul_lo_u32 v33, v6, s19
	v_mad_u64_u32 v[8:9], null, v6, s18, 0
	s_mov_b32 s13, 0
	v_add3_u32 v9, v9, v33, v32
	ds_read_b32 v33, v11
	v_lshlrev_b64 v[8:9], 2, v[8:9]
	v_add_co_u32 v8, vcc_lo, s22, v8
	v_add_co_ci_u32_e64 v9, null, s23, v9, vcc_lo
	global_load_dword v32, v[8:9], off
	s_waitcnt vmcnt(0) lgkmcnt(0)
	v_add_nc_u32_e32 v32, v33, v32
	global_store_dword v[8:9], v32, off
.LBB17_48:                              ;   in Loop: Header=BB17_3 Depth=1
	s_andn2_b32 vcc_lo, exec_lo, s13
	s_cbranch_vccnz .LBB17_2
; %bb.49:                               ;   in Loop: Header=BB17_3 Depth=1
	v_lshlrev_b64 v[6:7], 2, v[6:7]
	ds_read_b32 v9, v11
	v_add_co_u32 v6, vcc_lo, s16, v6
	v_add_co_ci_u32_e64 v7, null, s17, v7, vcc_lo
	global_load_dword v8, v[6:7], off
	s_waitcnt vmcnt(0) lgkmcnt(0)
	v_add_nc_u32_e32 v8, v9, v8
	global_store_dword v[6:7], v8, off
	s_branch .LBB17_2
.LBB17_50:
	s_endpgm
	.section	.rodata,"a",@progbits
	.p2align	6, 0x0
	.amdhsa_kernel _ZN9rocsparseL28csrmmnn_general_block_reduceILj1024ElliiEEvT0_PKT1_PKT3_PT2_l16rocsparse_order_
		.amdhsa_group_segment_fixed_size 12288
		.amdhsa_private_segment_fixed_size 0
		.amdhsa_kernarg_size 44
		.amdhsa_user_sgpr_count 6
		.amdhsa_user_sgpr_private_segment_buffer 1
		.amdhsa_user_sgpr_dispatch_ptr 0
		.amdhsa_user_sgpr_queue_ptr 0
		.amdhsa_user_sgpr_kernarg_segment_ptr 1
		.amdhsa_user_sgpr_dispatch_id 0
		.amdhsa_user_sgpr_flat_scratch_init 0
		.amdhsa_user_sgpr_private_segment_size 0
		.amdhsa_wavefront_size32 1
		.amdhsa_uses_dynamic_stack 0
		.amdhsa_system_sgpr_private_segment_wavefront_offset 0
		.amdhsa_system_sgpr_workgroup_id_x 1
		.amdhsa_system_sgpr_workgroup_id_y 0
		.amdhsa_system_sgpr_workgroup_id_z 0
		.amdhsa_system_sgpr_workgroup_info 0
		.amdhsa_system_vgpr_workitem_id 0
		.amdhsa_next_free_vgpr 36
		.amdhsa_next_free_sgpr 28
		.amdhsa_reserve_vcc 1
		.amdhsa_reserve_flat_scratch 0
		.amdhsa_float_round_mode_32 0
		.amdhsa_float_round_mode_16_64 0
		.amdhsa_float_denorm_mode_32 3
		.amdhsa_float_denorm_mode_16_64 3
		.amdhsa_dx10_clamp 1
		.amdhsa_ieee_mode 1
		.amdhsa_fp16_overflow 0
		.amdhsa_workgroup_processor_mode 1
		.amdhsa_memory_ordered 1
		.amdhsa_forward_progress 1
		.amdhsa_shared_vgpr_count 0
		.amdhsa_exception_fp_ieee_invalid_op 0
		.amdhsa_exception_fp_denorm_src 0
		.amdhsa_exception_fp_ieee_div_zero 0
		.amdhsa_exception_fp_ieee_overflow 0
		.amdhsa_exception_fp_ieee_underflow 0
		.amdhsa_exception_fp_ieee_inexact 0
		.amdhsa_exception_int_div_zero 0
	.end_amdhsa_kernel
	.section	.text._ZN9rocsparseL28csrmmnn_general_block_reduceILj1024ElliiEEvT0_PKT1_PKT3_PT2_l16rocsparse_order_,"axG",@progbits,_ZN9rocsparseL28csrmmnn_general_block_reduceILj1024ElliiEEvT0_PKT1_PKT3_PT2_l16rocsparse_order_,comdat
.Lfunc_end17:
	.size	_ZN9rocsparseL28csrmmnn_general_block_reduceILj1024ElliiEEvT0_PKT1_PKT3_PT2_l16rocsparse_order_, .Lfunc_end17-_ZN9rocsparseL28csrmmnn_general_block_reduceILj1024ElliiEEvT0_PKT1_PKT3_PT2_l16rocsparse_order_
                                        ; -- End function
	.set _ZN9rocsparseL28csrmmnn_general_block_reduceILj1024ElliiEEvT0_PKT1_PKT3_PT2_l16rocsparse_order_.num_vgpr, 36
	.set _ZN9rocsparseL28csrmmnn_general_block_reduceILj1024ElliiEEvT0_PKT1_PKT3_PT2_l16rocsparse_order_.num_agpr, 0
	.set _ZN9rocsparseL28csrmmnn_general_block_reduceILj1024ElliiEEvT0_PKT1_PKT3_PT2_l16rocsparse_order_.numbered_sgpr, 28
	.set _ZN9rocsparseL28csrmmnn_general_block_reduceILj1024ElliiEEvT0_PKT1_PKT3_PT2_l16rocsparse_order_.num_named_barrier, 0
	.set _ZN9rocsparseL28csrmmnn_general_block_reduceILj1024ElliiEEvT0_PKT1_PKT3_PT2_l16rocsparse_order_.private_seg_size, 0
	.set _ZN9rocsparseL28csrmmnn_general_block_reduceILj1024ElliiEEvT0_PKT1_PKT3_PT2_l16rocsparse_order_.uses_vcc, 1
	.set _ZN9rocsparseL28csrmmnn_general_block_reduceILj1024ElliiEEvT0_PKT1_PKT3_PT2_l16rocsparse_order_.uses_flat_scratch, 0
	.set _ZN9rocsparseL28csrmmnn_general_block_reduceILj1024ElliiEEvT0_PKT1_PKT3_PT2_l16rocsparse_order_.has_dyn_sized_stack, 0
	.set _ZN9rocsparseL28csrmmnn_general_block_reduceILj1024ElliiEEvT0_PKT1_PKT3_PT2_l16rocsparse_order_.has_recursion, 0
	.set _ZN9rocsparseL28csrmmnn_general_block_reduceILj1024ElliiEEvT0_PKT1_PKT3_PT2_l16rocsparse_order_.has_indirect_call, 0
	.section	.AMDGPU.csdata,"",@progbits
; Kernel info:
; codeLenInByte = 2004
; TotalNumSgprs: 30
; NumVgprs: 36
; ScratchSize: 0
; MemoryBound: 0
; FloatMode: 240
; IeeeMode: 1
; LDSByteSize: 12288 bytes/workgroup (compile time only)
; SGPRBlocks: 0
; VGPRBlocks: 4
; NumSGPRsForWavesPerEU: 30
; NumVGPRsForWavesPerEU: 36
; Occupancy: 16
; WaveLimiterHint : 0
; COMPUTE_PGM_RSRC2:SCRATCH_EN: 0
; COMPUTE_PGM_RSRC2:USER_SGPR: 6
; COMPUTE_PGM_RSRC2:TRAP_HANDLER: 0
; COMPUTE_PGM_RSRC2:TGID_X_EN: 1
; COMPUTE_PGM_RSRC2:TGID_Y_EN: 0
; COMPUTE_PGM_RSRC2:TGID_Z_EN: 0
; COMPUTE_PGM_RSRC2:TIDIG_COMP_CNT: 0
	.section	.AMDGPU.gpr_maximums,"",@progbits
	.set amdgpu.max_num_vgpr, 0
	.set amdgpu.max_num_agpr, 0
	.set amdgpu.max_num_sgpr, 0
	.section	.AMDGPU.csdata,"",@progbits
	.type	__hip_cuid_e4b854cd6317ca21,@object ; @__hip_cuid_e4b854cd6317ca21
	.section	.bss,"aw",@nobits
	.globl	__hip_cuid_e4b854cd6317ca21
__hip_cuid_e4b854cd6317ca21:
	.byte	0                               ; 0x0
	.size	__hip_cuid_e4b854cd6317ca21, 1

	.ident	"AMD clang version 22.0.0git (https://github.com/RadeonOpenCompute/llvm-project roc-7.2.4 26084 f58b06dce1f9c15707c5f808fd002e18c2accf7e)"
	.section	".note.GNU-stack","",@progbits
	.addrsig
	.addrsig_sym __hip_cuid_e4b854cd6317ca21
	.amdgpu_metadata
---
amdhsa.kernels:
  - .args:
      - .offset:         0
        .size:           4
        .value_kind:     by_value
      - .offset:         4
        .size:           4
        .value_kind:     by_value
      - .offset:         8
        .size:           4
        .value_kind:     by_value
      - .actual_access:  read_only
        .address_space:  global
        .offset:         16
        .size:           8
        .value_kind:     global_buffer
      - .actual_access:  write_only
        .address_space:  global
        .offset:         24
        .size:           8
        .value_kind:     global_buffer
      - .offset:         32
        .size:           4
        .value_kind:     by_value
    .group_segment_fixed_size: 0
    .kernarg_segment_align: 8
    .kernarg_segment_size: 36
    .language:       OpenCL C
    .language_version:
      - 2
      - 0
    .max_flat_workgroup_size: 256
    .name:           _ZN9rocsparseL36csrmmnn_nnz_split_compute_row_limitsILj256ELj256EiiEEvT2_T1_S2_PKS2_PS1_21rocsparse_index_base_
    .private_segment_fixed_size: 0
    .sgpr_count:     14
    .sgpr_spill_count: 0
    .symbol:         _ZN9rocsparseL36csrmmnn_nnz_split_compute_row_limitsILj256ELj256EiiEEvT2_T1_S2_PKS2_PS1_21rocsparse_index_base_.kd
    .uniform_work_group_size: 1
    .uses_dynamic_stack: false
    .vgpr_count:     9
    .vgpr_spill_count: 0
    .wavefront_size: 32
    .workgroup_processor_mode: 1
  - .args:
      - .offset:         0
        .size:           4
        .value_kind:     by_value
      - .offset:         8
        .size:           8
        .value_kind:     by_value
      - .offset:         16
        .size:           8
        .value_kind:     by_value
      - .actual_access:  read_only
        .address_space:  global
        .offset:         24
        .size:           8
        .value_kind:     global_buffer
      - .actual_access:  write_only
        .address_space:  global
        .offset:         32
        .size:           8
        .value_kind:     global_buffer
      - .offset:         40
        .size:           4
        .value_kind:     by_value
    .group_segment_fixed_size: 0
    .kernarg_segment_align: 8
    .kernarg_segment_size: 44
    .language:       OpenCL C
    .language_version:
      - 2
      - 0
    .max_flat_workgroup_size: 256
    .name:           _ZN9rocsparseL36csrmmnn_nnz_split_compute_row_limitsILj256ELj256EliEEvT2_T1_S2_PKS2_PS1_21rocsparse_index_base_
    .private_segment_fixed_size: 0
    .sgpr_count:     14
    .sgpr_spill_count: 0
    .symbol:         _ZN9rocsparseL36csrmmnn_nnz_split_compute_row_limitsILj256ELj256EliEEvT2_T1_S2_PKS2_PS1_21rocsparse_index_base_.kd
    .uniform_work_group_size: 1
    .uses_dynamic_stack: false
    .vgpr_count:     11
    .vgpr_spill_count: 0
    .wavefront_size: 32
    .workgroup_processor_mode: 1
  - .args:
      - .offset:         0
        .size:           8
        .value_kind:     by_value
      - .offset:         8
        .size:           8
        .value_kind:     by_value
      - .offset:         16
        .size:           8
        .value_kind:     by_value
      - .actual_access:  read_only
        .address_space:  global
        .offset:         24
        .size:           8
        .value_kind:     global_buffer
      - .actual_access:  write_only
        .address_space:  global
        .offset:         32
        .size:           8
        .value_kind:     global_buffer
      - .offset:         40
        .size:           4
        .value_kind:     by_value
    .group_segment_fixed_size: 0
    .kernarg_segment_align: 8
    .kernarg_segment_size: 44
    .language:       OpenCL C
    .language_version:
      - 2
      - 0
    .max_flat_workgroup_size: 256
    .name:           _ZN9rocsparseL36csrmmnn_nnz_split_compute_row_limitsILj256ELj256EllEEvT2_T1_S2_PKS2_PS1_21rocsparse_index_base_
    .private_segment_fixed_size: 0
    .sgpr_count:     18
    .sgpr_spill_count: 0
    .symbol:         _ZN9rocsparseL36csrmmnn_nnz_split_compute_row_limitsILj256ELj256EllEEvT2_T1_S2_PKS2_PS1_21rocsparse_index_base_.kd
    .uniform_work_group_size: 1
    .uses_dynamic_stack: false
    .vgpr_count:     12
    .vgpr_spill_count: 0
    .wavefront_size: 32
    .workgroup_processor_mode: 1
  - .args:
      - .offset:         0
        .size:           4
        .value_kind:     by_value
      - .actual_access:  read_only
        .address_space:  global
        .offset:         8
        .size:           8
        .value_kind:     global_buffer
      - .actual_access:  read_only
        .address_space:  global
        .offset:         16
        .size:           8
        .value_kind:     global_buffer
      - .address_space:  global
        .offset:         24
        .size:           8
        .value_kind:     global_buffer
      - .offset:         32
        .size:           8
        .value_kind:     by_value
      - .offset:         40
        .size:           4
        .value_kind:     by_value
    .group_segment_fixed_size: 8192
    .kernarg_segment_align: 8
    .kernarg_segment_size: 44
    .language:       OpenCL C
    .language_version:
      - 2
      - 0
    .max_flat_workgroup_size: 1024
    .name:           _ZN9rocsparseL28csrmmnn_general_block_reduceILj1024EiiffEEvT0_PKT1_PKT3_PT2_l16rocsparse_order_
    .private_segment_fixed_size: 0
    .sgpr_count:     30
    .sgpr_spill_count: 0
    .symbol:         _ZN9rocsparseL28csrmmnn_general_block_reduceILj1024EiiffEEvT0_PKT1_PKT3_PT2_l16rocsparse_order_.kd
    .uniform_work_group_size: 1
    .uses_dynamic_stack: false
    .vgpr_count:     29
    .vgpr_spill_count: 0
    .wavefront_size: 32
    .workgroup_processor_mode: 1
  - .args:
      - .offset:         0
        .size:           8
        .value_kind:     by_value
      - .actual_access:  read_only
        .address_space:  global
        .offset:         8
        .size:           8
        .value_kind:     global_buffer
      - .actual_access:  read_only
        .address_space:  global
        .offset:         16
        .size:           8
        .value_kind:     global_buffer
      - .address_space:  global
        .offset:         24
        .size:           8
        .value_kind:     global_buffer
      - .offset:         32
        .size:           8
        .value_kind:     by_value
      - .offset:         40
        .size:           4
        .value_kind:     by_value
    .group_segment_fixed_size: 12288
    .kernarg_segment_align: 8
    .kernarg_segment_size: 44
    .language:       OpenCL C
    .language_version:
      - 2
      - 0
    .max_flat_workgroup_size: 1024
    .name:           _ZN9rocsparseL28csrmmnn_general_block_reduceILj1024EliffEEvT0_PKT1_PKT3_PT2_l16rocsparse_order_
    .private_segment_fixed_size: 0
    .sgpr_count:     30
    .sgpr_spill_count: 0
    .symbol:         _ZN9rocsparseL28csrmmnn_general_block_reduceILj1024EliffEEvT0_PKT1_PKT3_PT2_l16rocsparse_order_.kd
    .uniform_work_group_size: 1
    .uses_dynamic_stack: false
    .vgpr_count:     36
    .vgpr_spill_count: 0
    .wavefront_size: 32
    .workgroup_processor_mode: 1
  - .args:
      - .offset:         0
        .size:           8
        .value_kind:     by_value
      - .actual_access:  read_only
        .address_space:  global
        .offset:         8
        .size:           8
        .value_kind:     global_buffer
      - .actual_access:  read_only
        .address_space:  global
        .offset:         16
        .size:           8
        .value_kind:     global_buffer
      - .address_space:  global
        .offset:         24
        .size:           8
        .value_kind:     global_buffer
      - .offset:         32
        .size:           8
        .value_kind:     by_value
      - .offset:         40
        .size:           4
        .value_kind:     by_value
    .group_segment_fixed_size: 12288
    .kernarg_segment_align: 8
    .kernarg_segment_size: 44
    .language:       OpenCL C
    .language_version:
      - 2
      - 0
    .max_flat_workgroup_size: 1024
    .name:           _ZN9rocsparseL28csrmmnn_general_block_reduceILj1024EllffEEvT0_PKT1_PKT3_PT2_l16rocsparse_order_
    .private_segment_fixed_size: 0
    .sgpr_count:     30
    .sgpr_spill_count: 0
    .symbol:         _ZN9rocsparseL28csrmmnn_general_block_reduceILj1024EllffEEvT0_PKT1_PKT3_PT2_l16rocsparse_order_.kd
    .uniform_work_group_size: 1
    .uses_dynamic_stack: false
    .vgpr_count:     36
    .vgpr_spill_count: 0
    .wavefront_size: 32
    .workgroup_processor_mode: 1
  - .args:
      - .offset:         0
        .size:           4
        .value_kind:     by_value
      - .actual_access:  read_only
        .address_space:  global
        .offset:         8
        .size:           8
        .value_kind:     global_buffer
      - .actual_access:  read_only
        .address_space:  global
        .offset:         16
        .size:           8
        .value_kind:     global_buffer
      - .address_space:  global
        .offset:         24
        .size:           8
        .value_kind:     global_buffer
      - .offset:         32
        .size:           8
        .value_kind:     by_value
      - .offset:         40
        .size:           4
        .value_kind:     by_value
    .group_segment_fixed_size: 12288
    .kernarg_segment_align: 8
    .kernarg_segment_size: 44
    .language:       OpenCL C
    .language_version:
      - 2
      - 0
    .max_flat_workgroup_size: 1024
    .name:           _ZN9rocsparseL28csrmmnn_general_block_reduceILj1024EiiddEEvT0_PKT1_PKT3_PT2_l16rocsparse_order_
    .private_segment_fixed_size: 0
    .sgpr_count:     30
    .sgpr_spill_count: 0
    .symbol:         _ZN9rocsparseL28csrmmnn_general_block_reduceILj1024EiiddEEvT0_PKT1_PKT3_PT2_l16rocsparse_order_.kd
    .uniform_work_group_size: 1
    .uses_dynamic_stack: false
    .vgpr_count:     31
    .vgpr_spill_count: 0
    .wavefront_size: 32
    .workgroup_processor_mode: 1
  - .args:
      - .offset:         0
        .size:           8
        .value_kind:     by_value
      - .actual_access:  read_only
        .address_space:  global
        .offset:         8
        .size:           8
        .value_kind:     global_buffer
      - .actual_access:  read_only
        .address_space:  global
        .offset:         16
        .size:           8
        .value_kind:     global_buffer
      - .address_space:  global
        .offset:         24
        .size:           8
        .value_kind:     global_buffer
      - .offset:         32
        .size:           8
        .value_kind:     by_value
      - .offset:         40
        .size:           4
        .value_kind:     by_value
    .group_segment_fixed_size: 16384
    .kernarg_segment_align: 8
    .kernarg_segment_size: 44
    .language:       OpenCL C
    .language_version:
      - 2
      - 0
    .max_flat_workgroup_size: 1024
    .name:           _ZN9rocsparseL28csrmmnn_general_block_reduceILj1024EliddEEvT0_PKT1_PKT3_PT2_l16rocsparse_order_
    .private_segment_fixed_size: 0
    .sgpr_count:     30
    .sgpr_spill_count: 0
    .symbol:         _ZN9rocsparseL28csrmmnn_general_block_reduceILj1024EliddEEvT0_PKT1_PKT3_PT2_l16rocsparse_order_.kd
    .uniform_work_group_size: 1
    .uses_dynamic_stack: false
    .vgpr_count:     36
    .vgpr_spill_count: 0
    .wavefront_size: 32
    .workgroup_processor_mode: 1
  - .args:
      - .offset:         0
        .size:           8
        .value_kind:     by_value
      - .actual_access:  read_only
        .address_space:  global
        .offset:         8
        .size:           8
        .value_kind:     global_buffer
      - .actual_access:  read_only
        .address_space:  global
        .offset:         16
        .size:           8
        .value_kind:     global_buffer
      - .address_space:  global
        .offset:         24
        .size:           8
        .value_kind:     global_buffer
      - .offset:         32
        .size:           8
        .value_kind:     by_value
      - .offset:         40
        .size:           4
        .value_kind:     by_value
    .group_segment_fixed_size: 16384
    .kernarg_segment_align: 8
    .kernarg_segment_size: 44
    .language:       OpenCL C
    .language_version:
      - 2
      - 0
    .max_flat_workgroup_size: 1024
    .name:           _ZN9rocsparseL28csrmmnn_general_block_reduceILj1024EllddEEvT0_PKT1_PKT3_PT2_l16rocsparse_order_
    .private_segment_fixed_size: 0
    .sgpr_count:     30
    .sgpr_spill_count: 0
    .symbol:         _ZN9rocsparseL28csrmmnn_general_block_reduceILj1024EllddEEvT0_PKT1_PKT3_PT2_l16rocsparse_order_.kd
    .uniform_work_group_size: 1
    .uses_dynamic_stack: false
    .vgpr_count:     36
    .vgpr_spill_count: 0
    .wavefront_size: 32
    .workgroup_processor_mode: 1
  - .args:
      - .offset:         0
        .size:           4
        .value_kind:     by_value
      - .actual_access:  read_only
        .address_space:  global
        .offset:         8
        .size:           8
        .value_kind:     global_buffer
      - .actual_access:  read_only
        .address_space:  global
        .offset:         16
        .size:           8
        .value_kind:     global_buffer
      - .address_space:  global
        .offset:         24
        .size:           8
        .value_kind:     global_buffer
      - .offset:         32
        .size:           8
        .value_kind:     by_value
      - .offset:         40
        .size:           4
        .value_kind:     by_value
    .group_segment_fixed_size: 12288
    .kernarg_segment_align: 8
    .kernarg_segment_size: 44
    .language:       OpenCL C
    .language_version:
      - 2
      - 0
    .max_flat_workgroup_size: 1024
    .name:           _ZN9rocsparseL28csrmmnn_general_block_reduceILj1024Eii21rocsparse_complex_numIfES2_EEvT0_PKT1_PKT3_PT2_l16rocsparse_order_
    .private_segment_fixed_size: 0
    .sgpr_count:     30
    .sgpr_spill_count: 0
    .symbol:         _ZN9rocsparseL28csrmmnn_general_block_reduceILj1024Eii21rocsparse_complex_numIfES2_EEvT0_PKT1_PKT3_PT2_l16rocsparse_order_.kd
    .uniform_work_group_size: 1
    .uses_dynamic_stack: false
    .vgpr_count:     31
    .vgpr_spill_count: 0
    .wavefront_size: 32
    .workgroup_processor_mode: 1
  - .args:
      - .offset:         0
        .size:           8
        .value_kind:     by_value
      - .actual_access:  read_only
        .address_space:  global
        .offset:         8
        .size:           8
        .value_kind:     global_buffer
      - .actual_access:  read_only
        .address_space:  global
        .offset:         16
        .size:           8
        .value_kind:     global_buffer
      - .address_space:  global
        .offset:         24
        .size:           8
        .value_kind:     global_buffer
      - .offset:         32
        .size:           8
        .value_kind:     by_value
      - .offset:         40
        .size:           4
        .value_kind:     by_value
    .group_segment_fixed_size: 16384
    .kernarg_segment_align: 8
    .kernarg_segment_size: 44
    .language:       OpenCL C
    .language_version:
      - 2
      - 0
    .max_flat_workgroup_size: 1024
    .name:           _ZN9rocsparseL28csrmmnn_general_block_reduceILj1024Eli21rocsparse_complex_numIfES2_EEvT0_PKT1_PKT3_PT2_l16rocsparse_order_
    .private_segment_fixed_size: 0
    .sgpr_count:     30
    .sgpr_spill_count: 0
    .symbol:         _ZN9rocsparseL28csrmmnn_general_block_reduceILj1024Eli21rocsparse_complex_numIfES2_EEvT0_PKT1_PKT3_PT2_l16rocsparse_order_.kd
    .uniform_work_group_size: 1
    .uses_dynamic_stack: false
    .vgpr_count:     36
    .vgpr_spill_count: 0
    .wavefront_size: 32
    .workgroup_processor_mode: 1
  - .args:
      - .offset:         0
        .size:           8
        .value_kind:     by_value
      - .actual_access:  read_only
        .address_space:  global
        .offset:         8
        .size:           8
        .value_kind:     global_buffer
      - .actual_access:  read_only
        .address_space:  global
        .offset:         16
        .size:           8
        .value_kind:     global_buffer
      - .address_space:  global
        .offset:         24
        .size:           8
        .value_kind:     global_buffer
      - .offset:         32
        .size:           8
        .value_kind:     by_value
      - .offset:         40
        .size:           4
        .value_kind:     by_value
    .group_segment_fixed_size: 16384
    .kernarg_segment_align: 8
    .kernarg_segment_size: 44
    .language:       OpenCL C
    .language_version:
      - 2
      - 0
    .max_flat_workgroup_size: 1024
    .name:           _ZN9rocsparseL28csrmmnn_general_block_reduceILj1024Ell21rocsparse_complex_numIfES2_EEvT0_PKT1_PKT3_PT2_l16rocsparse_order_
    .private_segment_fixed_size: 0
    .sgpr_count:     30
    .sgpr_spill_count: 0
    .symbol:         _ZN9rocsparseL28csrmmnn_general_block_reduceILj1024Ell21rocsparse_complex_numIfES2_EEvT0_PKT1_PKT3_PT2_l16rocsparse_order_.kd
    .uniform_work_group_size: 1
    .uses_dynamic_stack: false
    .vgpr_count:     36
    .vgpr_spill_count: 0
    .wavefront_size: 32
    .workgroup_processor_mode: 1
  - .args:
      - .offset:         0
        .size:           4
        .value_kind:     by_value
      - .actual_access:  read_only
        .address_space:  global
        .offset:         8
        .size:           8
        .value_kind:     global_buffer
      - .actual_access:  read_only
        .address_space:  global
        .offset:         16
        .size:           8
        .value_kind:     global_buffer
      - .address_space:  global
        .offset:         24
        .size:           8
        .value_kind:     global_buffer
      - .offset:         32
        .size:           8
        .value_kind:     by_value
      - .offset:         40
        .size:           4
        .value_kind:     by_value
    .group_segment_fixed_size: 20480
    .kernarg_segment_align: 8
    .kernarg_segment_size: 44
    .language:       OpenCL C
    .language_version:
      - 2
      - 0
    .max_flat_workgroup_size: 1024
    .name:           _ZN9rocsparseL28csrmmnn_general_block_reduceILj1024Eii21rocsparse_complex_numIdES2_EEvT0_PKT1_PKT3_PT2_l16rocsparse_order_
    .private_segment_fixed_size: 0
    .sgpr_count:     30
    .sgpr_spill_count: 0
    .symbol:         _ZN9rocsparseL28csrmmnn_general_block_reduceILj1024Eii21rocsparse_complex_numIdES2_EEvT0_PKT1_PKT3_PT2_l16rocsparse_order_.kd
    .uniform_work_group_size: 1
    .uses_dynamic_stack: false
    .vgpr_count:     37
    .vgpr_spill_count: 0
    .wavefront_size: 32
    .workgroup_processor_mode: 1
  - .args:
      - .offset:         0
        .size:           8
        .value_kind:     by_value
      - .actual_access:  read_only
        .address_space:  global
        .offset:         8
        .size:           8
        .value_kind:     global_buffer
      - .actual_access:  read_only
        .address_space:  global
        .offset:         16
        .size:           8
        .value_kind:     global_buffer
      - .address_space:  global
        .offset:         24
        .size:           8
        .value_kind:     global_buffer
      - .offset:         32
        .size:           8
        .value_kind:     by_value
      - .offset:         40
        .size:           4
        .value_kind:     by_value
    .group_segment_fixed_size: 24576
    .kernarg_segment_align: 8
    .kernarg_segment_size: 44
    .language:       OpenCL C
    .language_version:
      - 2
      - 0
    .max_flat_workgroup_size: 1024
    .name:           _ZN9rocsparseL28csrmmnn_general_block_reduceILj1024Eli21rocsparse_complex_numIdES2_EEvT0_PKT1_PKT3_PT2_l16rocsparse_order_
    .private_segment_fixed_size: 0
    .sgpr_count:     30
    .sgpr_spill_count: 0
    .symbol:         _ZN9rocsparseL28csrmmnn_general_block_reduceILj1024Eli21rocsparse_complex_numIdES2_EEvT0_PKT1_PKT3_PT2_l16rocsparse_order_.kd
    .uniform_work_group_size: 1
    .uses_dynamic_stack: false
    .vgpr_count:     40
    .vgpr_spill_count: 0
    .wavefront_size: 32
    .workgroup_processor_mode: 1
  - .args:
      - .offset:         0
        .size:           8
        .value_kind:     by_value
      - .actual_access:  read_only
        .address_space:  global
        .offset:         8
        .size:           8
        .value_kind:     global_buffer
      - .actual_access:  read_only
        .address_space:  global
        .offset:         16
        .size:           8
        .value_kind:     global_buffer
      - .address_space:  global
        .offset:         24
        .size:           8
        .value_kind:     global_buffer
      - .offset:         32
        .size:           8
        .value_kind:     by_value
      - .offset:         40
        .size:           4
        .value_kind:     by_value
    .group_segment_fixed_size: 24576
    .kernarg_segment_align: 8
    .kernarg_segment_size: 44
    .language:       OpenCL C
    .language_version:
      - 2
      - 0
    .max_flat_workgroup_size: 1024
    .name:           _ZN9rocsparseL28csrmmnn_general_block_reduceILj1024Ell21rocsparse_complex_numIdES2_EEvT0_PKT1_PKT3_PT2_l16rocsparse_order_
    .private_segment_fixed_size: 0
    .sgpr_count:     30
    .sgpr_spill_count: 0
    .symbol:         _ZN9rocsparseL28csrmmnn_general_block_reduceILj1024Ell21rocsparse_complex_numIdES2_EEvT0_PKT1_PKT3_PT2_l16rocsparse_order_.kd
    .uniform_work_group_size: 1
    .uses_dynamic_stack: false
    .vgpr_count:     40
    .vgpr_spill_count: 0
    .wavefront_size: 32
    .workgroup_processor_mode: 1
  - .args:
      - .offset:         0
        .size:           4
        .value_kind:     by_value
      - .actual_access:  read_only
        .address_space:  global
        .offset:         8
        .size:           8
        .value_kind:     global_buffer
      - .actual_access:  read_only
        .address_space:  global
        .offset:         16
        .size:           8
        .value_kind:     global_buffer
      - .address_space:  global
        .offset:         24
        .size:           8
        .value_kind:     global_buffer
      - .offset:         32
        .size:           8
        .value_kind:     by_value
      - .offset:         40
        .size:           4
        .value_kind:     by_value
    .group_segment_fixed_size: 8192
    .kernarg_segment_align: 8
    .kernarg_segment_size: 44
    .language:       OpenCL C
    .language_version:
      - 2
      - 0
    .max_flat_workgroup_size: 1024
    .name:           _ZN9rocsparseL28csrmmnn_general_block_reduceILj1024EiiiiEEvT0_PKT1_PKT3_PT2_l16rocsparse_order_
    .private_segment_fixed_size: 0
    .sgpr_count:     30
    .sgpr_spill_count: 0
    .symbol:         _ZN9rocsparseL28csrmmnn_general_block_reduceILj1024EiiiiEEvT0_PKT1_PKT3_PT2_l16rocsparse_order_.kd
    .uniform_work_group_size: 1
    .uses_dynamic_stack: false
    .vgpr_count:     29
    .vgpr_spill_count: 0
    .wavefront_size: 32
    .workgroup_processor_mode: 1
  - .args:
      - .offset:         0
        .size:           8
        .value_kind:     by_value
      - .actual_access:  read_only
        .address_space:  global
        .offset:         8
        .size:           8
        .value_kind:     global_buffer
      - .actual_access:  read_only
        .address_space:  global
        .offset:         16
        .size:           8
        .value_kind:     global_buffer
      - .address_space:  global
        .offset:         24
        .size:           8
        .value_kind:     global_buffer
      - .offset:         32
        .size:           8
        .value_kind:     by_value
      - .offset:         40
        .size:           4
        .value_kind:     by_value
    .group_segment_fixed_size: 12288
    .kernarg_segment_align: 8
    .kernarg_segment_size: 44
    .language:       OpenCL C
    .language_version:
      - 2
      - 0
    .max_flat_workgroup_size: 1024
    .name:           _ZN9rocsparseL28csrmmnn_general_block_reduceILj1024EliiiEEvT0_PKT1_PKT3_PT2_l16rocsparse_order_
    .private_segment_fixed_size: 0
    .sgpr_count:     30
    .sgpr_spill_count: 0
    .symbol:         _ZN9rocsparseL28csrmmnn_general_block_reduceILj1024EliiiEEvT0_PKT1_PKT3_PT2_l16rocsparse_order_.kd
    .uniform_work_group_size: 1
    .uses_dynamic_stack: false
    .vgpr_count:     36
    .vgpr_spill_count: 0
    .wavefront_size: 32
    .workgroup_processor_mode: 1
  - .args:
      - .offset:         0
        .size:           8
        .value_kind:     by_value
      - .actual_access:  read_only
        .address_space:  global
        .offset:         8
        .size:           8
        .value_kind:     global_buffer
      - .actual_access:  read_only
        .address_space:  global
        .offset:         16
        .size:           8
        .value_kind:     global_buffer
      - .address_space:  global
        .offset:         24
        .size:           8
        .value_kind:     global_buffer
      - .offset:         32
        .size:           8
        .value_kind:     by_value
      - .offset:         40
        .size:           4
        .value_kind:     by_value
    .group_segment_fixed_size: 12288
    .kernarg_segment_align: 8
    .kernarg_segment_size: 44
    .language:       OpenCL C
    .language_version:
      - 2
      - 0
    .max_flat_workgroup_size: 1024
    .name:           _ZN9rocsparseL28csrmmnn_general_block_reduceILj1024ElliiEEvT0_PKT1_PKT3_PT2_l16rocsparse_order_
    .private_segment_fixed_size: 0
    .sgpr_count:     30
    .sgpr_spill_count: 0
    .symbol:         _ZN9rocsparseL28csrmmnn_general_block_reduceILj1024ElliiEEvT0_PKT1_PKT3_PT2_l16rocsparse_order_.kd
    .uniform_work_group_size: 1
    .uses_dynamic_stack: false
    .vgpr_count:     36
    .vgpr_spill_count: 0
    .wavefront_size: 32
    .workgroup_processor_mode: 1
amdhsa.target:   amdgcn-amd-amdhsa--gfx1030
amdhsa.version:
  - 1
  - 2
...

	.end_amdgpu_metadata
